;; amdgpu-corpus repo=ROCm/rocFFT kind=compiled arch=gfx950 opt=O3
	.text
	.amdgcn_target "amdgcn-amd-amdhsa--gfx950"
	.amdhsa_code_object_version 6
	.protected	fft_rtc_fwd_len1352_factors_2_13_13_4_wgs_52_tpt_52_halfLds_sp_ip_CI_sbrr_dirReg ; -- Begin function fft_rtc_fwd_len1352_factors_2_13_13_4_wgs_52_tpt_52_halfLds_sp_ip_CI_sbrr_dirReg
	.globl	fft_rtc_fwd_len1352_factors_2_13_13_4_wgs_52_tpt_52_halfLds_sp_ip_CI_sbrr_dirReg
	.p2align	8
	.type	fft_rtc_fwd_len1352_factors_2_13_13_4_wgs_52_tpt_52_halfLds_sp_ip_CI_sbrr_dirReg,@function
fft_rtc_fwd_len1352_factors_2_13_13_4_wgs_52_tpt_52_halfLds_sp_ip_CI_sbrr_dirReg: ; @fft_rtc_fwd_len1352_factors_2_13_13_4_wgs_52_tpt_52_halfLds_sp_ip_CI_sbrr_dirReg
; %bb.0:
	s_load_dwordx2 s[12:13], s[0:1], 0x18
	s_load_dwordx4 s[4:7], s[0:1], 0x0
	s_load_dwordx2 s[10:11], s[0:1], 0x50
	v_mul_u32_u24_e32 v1, 0x4ed, v0
	v_add_u32_sdwa v6, s2, v1 dst_sel:DWORD dst_unused:UNUSED_PAD src0_sel:DWORD src1_sel:WORD_1
	s_waitcnt lgkmcnt(0)
	s_load_dwordx2 s[8:9], s[12:13], 0x0
	v_mov_b32_e32 v4, 0
	v_cmp_lt_u64_e64 s[2:3], s[6:7], 2
	v_mov_b32_e32 v7, v4
	s_and_b64 vcc, exec, s[2:3]
	v_mov_b64_e32 v[2:3], 0
	s_cbranch_vccnz .LBB0_8
; %bb.1:
	s_load_dwordx2 s[2:3], s[0:1], 0x10
	s_add_u32 s14, s12, 8
	s_addc_u32 s15, s13, 0
	s_mov_b64 s[16:17], 1
	v_mov_b64_e32 v[2:3], 0
	s_waitcnt lgkmcnt(0)
	s_add_u32 s18, s2, 8
	s_addc_u32 s19, s3, 0
.LBB0_2:                                ; =>This Inner Loop Header: Depth=1
	s_load_dwordx2 s[20:21], s[18:19], 0x0
                                        ; implicit-def: $vgpr8_vgpr9
	s_waitcnt lgkmcnt(0)
	v_or_b32_e32 v5, s21, v7
	v_cmp_ne_u64_e32 vcc, 0, v[4:5]
	s_and_saveexec_b64 s[2:3], vcc
	s_xor_b64 s[22:23], exec, s[2:3]
	s_cbranch_execz .LBB0_4
; %bb.3:                                ;   in Loop: Header=BB0_2 Depth=1
	v_cvt_f32_u32_e32 v1, s20
	v_cvt_f32_u32_e32 v5, s21
	s_sub_u32 s2, 0, s20
	s_subb_u32 s3, 0, s21
	v_fmac_f32_e32 v1, 0x4f800000, v5
	v_rcp_f32_e32 v1, v1
	s_nop 0
	v_mul_f32_e32 v1, 0x5f7ffffc, v1
	v_mul_f32_e32 v5, 0x2f800000, v1
	v_trunc_f32_e32 v5, v5
	v_fmac_f32_e32 v1, 0xcf800000, v5
	v_cvt_u32_f32_e32 v5, v5
	v_cvt_u32_f32_e32 v1, v1
	v_mul_lo_u32 v8, s2, v5
	v_mul_hi_u32 v10, s2, v1
	v_mul_lo_u32 v9, s3, v1
	v_add_u32_e32 v10, v10, v8
	v_mul_lo_u32 v12, s2, v1
	v_add_u32_e32 v13, v10, v9
	v_mul_hi_u32 v8, v1, v12
	v_mul_hi_u32 v11, v1, v13
	v_mul_lo_u32 v10, v1, v13
	v_mov_b32_e32 v9, v4
	v_lshl_add_u64 v[8:9], v[8:9], 0, v[10:11]
	v_mul_hi_u32 v11, v5, v12
	v_mul_lo_u32 v12, v5, v12
	v_add_co_u32_e32 v8, vcc, v8, v12
	v_mul_hi_u32 v10, v5, v13
	s_nop 0
	v_addc_co_u32_e32 v8, vcc, v9, v11, vcc
	v_mov_b32_e32 v9, v4
	s_nop 0
	v_addc_co_u32_e32 v11, vcc, 0, v10, vcc
	v_mul_lo_u32 v10, v5, v13
	v_lshl_add_u64 v[8:9], v[8:9], 0, v[10:11]
	v_add_co_u32_e32 v1, vcc, v1, v8
	v_mul_lo_u32 v10, s2, v1
	s_nop 0
	v_addc_co_u32_e32 v5, vcc, v5, v9, vcc
	v_mul_lo_u32 v8, s2, v5
	v_mul_hi_u32 v9, s2, v1
	v_add_u32_e32 v8, v9, v8
	v_mul_lo_u32 v9, s3, v1
	v_add_u32_e32 v12, v8, v9
	v_mul_hi_u32 v14, v5, v10
	v_mul_lo_u32 v15, v5, v10
	v_mul_hi_u32 v9, v1, v12
	v_mul_lo_u32 v8, v1, v12
	v_mul_hi_u32 v10, v1, v10
	v_mov_b32_e32 v11, v4
	v_lshl_add_u64 v[8:9], v[10:11], 0, v[8:9]
	v_add_co_u32_e32 v8, vcc, v8, v15
	v_mul_hi_u32 v13, v5, v12
	s_nop 0
	v_addc_co_u32_e32 v8, vcc, v9, v14, vcc
	v_mul_lo_u32 v10, v5, v12
	s_nop 0
	v_addc_co_u32_e32 v11, vcc, 0, v13, vcc
	v_mov_b32_e32 v9, v4
	v_lshl_add_u64 v[8:9], v[8:9], 0, v[10:11]
	v_add_co_u32_e32 v1, vcc, v1, v8
	v_mul_hi_u32 v10, v6, v1
	s_nop 0
	v_addc_co_u32_e32 v5, vcc, v5, v9, vcc
	v_mad_u64_u32 v[8:9], s[2:3], v6, v5, 0
	v_mov_b32_e32 v11, v4
	v_lshl_add_u64 v[8:9], v[10:11], 0, v[8:9]
	v_mad_u64_u32 v[12:13], s[2:3], v7, v1, 0
	v_add_co_u32_e32 v1, vcc, v8, v12
	v_mad_u64_u32 v[10:11], s[2:3], v7, v5, 0
	s_nop 0
	v_addc_co_u32_e32 v8, vcc, v9, v13, vcc
	v_mov_b32_e32 v9, v4
	s_nop 0
	v_addc_co_u32_e32 v11, vcc, 0, v11, vcc
	v_lshl_add_u64 v[8:9], v[8:9], 0, v[10:11]
	v_mul_lo_u32 v1, s21, v8
	v_mul_lo_u32 v5, s20, v9
	v_mad_u64_u32 v[10:11], s[2:3], s20, v8, 0
	v_add3_u32 v1, v11, v5, v1
	v_sub_u32_e32 v5, v7, v1
	v_mov_b32_e32 v11, s21
	v_sub_co_u32_e32 v14, vcc, v6, v10
	v_lshl_add_u64 v[12:13], v[8:9], 0, 1
	s_nop 0
	v_subb_co_u32_e64 v5, s[2:3], v5, v11, vcc
	v_subrev_co_u32_e64 v10, s[2:3], s20, v14
	v_subb_co_u32_e32 v1, vcc, v7, v1, vcc
	s_nop 0
	v_subbrev_co_u32_e64 v5, s[2:3], 0, v5, s[2:3]
	v_cmp_le_u32_e64 s[2:3], s21, v5
	v_cmp_le_u32_e32 vcc, s21, v1
	s_nop 0
	v_cndmask_b32_e64 v11, 0, -1, s[2:3]
	v_cmp_le_u32_e64 s[2:3], s20, v10
	s_nop 1
	v_cndmask_b32_e64 v10, 0, -1, s[2:3]
	v_cmp_eq_u32_e64 s[2:3], s21, v5
	s_nop 1
	v_cndmask_b32_e64 v5, v11, v10, s[2:3]
	v_lshl_add_u64 v[10:11], v[8:9], 0, 2
	v_cmp_ne_u32_e64 s[2:3], 0, v5
	s_nop 1
	v_cndmask_b32_e64 v5, v13, v11, s[2:3]
	v_cndmask_b32_e64 v11, 0, -1, vcc
	v_cmp_le_u32_e32 vcc, s20, v14
	s_nop 1
	v_cndmask_b32_e64 v13, 0, -1, vcc
	v_cmp_eq_u32_e32 vcc, s21, v1
	s_nop 1
	v_cndmask_b32_e32 v1, v11, v13, vcc
	v_cmp_ne_u32_e32 vcc, 0, v1
	v_cndmask_b32_e64 v1, v12, v10, s[2:3]
	s_nop 0
	v_cndmask_b32_e32 v9, v9, v5, vcc
	v_cndmask_b32_e32 v8, v8, v1, vcc
.LBB0_4:                                ;   in Loop: Header=BB0_2 Depth=1
	s_andn2_saveexec_b64 s[2:3], s[22:23]
	s_cbranch_execz .LBB0_6
; %bb.5:                                ;   in Loop: Header=BB0_2 Depth=1
	v_cvt_f32_u32_e32 v1, s20
	s_sub_i32 s22, 0, s20
	v_rcp_iflag_f32_e32 v1, v1
	s_nop 0
	v_mul_f32_e32 v1, 0x4f7ffffe, v1
	v_cvt_u32_f32_e32 v1, v1
	v_mul_lo_u32 v5, s22, v1
	v_mul_hi_u32 v5, v1, v5
	v_add_u32_e32 v1, v1, v5
	v_mul_hi_u32 v1, v6, v1
	v_mul_lo_u32 v5, v1, s20
	v_sub_u32_e32 v5, v6, v5
	v_add_u32_e32 v8, 1, v1
	v_subrev_u32_e32 v9, s20, v5
	v_cmp_le_u32_e32 vcc, s20, v5
	s_nop 1
	v_cndmask_b32_e32 v5, v5, v9, vcc
	v_cndmask_b32_e32 v1, v1, v8, vcc
	v_add_u32_e32 v8, 1, v1
	v_cmp_le_u32_e32 vcc, s20, v5
	v_mov_b32_e32 v9, v4
	s_nop 0
	v_cndmask_b32_e32 v8, v1, v8, vcc
.LBB0_6:                                ;   in Loop: Header=BB0_2 Depth=1
	s_or_b64 exec, exec, s[2:3]
	v_mad_u64_u32 v[10:11], s[2:3], v8, s20, 0
	s_load_dwordx2 s[2:3], s[14:15], 0x0
	v_mul_lo_u32 v1, v9, s20
	v_mul_lo_u32 v5, v8, s21
	v_add3_u32 v1, v11, v5, v1
	v_sub_co_u32_e32 v5, vcc, v6, v10
	s_add_u32 s16, s16, 1
	s_nop 0
	v_subb_co_u32_e32 v1, vcc, v7, v1, vcc
	s_addc_u32 s17, s17, 0
	s_waitcnt lgkmcnt(0)
	v_mul_lo_u32 v1, s2, v1
	v_mul_lo_u32 v6, s3, v5
	v_mad_u64_u32 v[2:3], s[2:3], s2, v5, v[2:3]
	s_add_u32 s14, s14, 8
	v_add3_u32 v3, v6, v3, v1
	s_addc_u32 s15, s15, 0
	v_mov_b64_e32 v[6:7], s[6:7]
	s_add_u32 s18, s18, 8
	v_cmp_ge_u64_e32 vcc, s[16:17], v[6:7]
	s_addc_u32 s19, s19, 0
	s_cbranch_vccnz .LBB0_9
; %bb.7:                                ;   in Loop: Header=BB0_2 Depth=1
	v_mov_b64_e32 v[6:7], v[8:9]
	s_branch .LBB0_2
.LBB0_8:
	v_mov_b64_e32 v[8:9], v[6:7]
.LBB0_9:
	s_lshl_b64 s[2:3], s[6:7], 3
	s_add_u32 s2, s12, s2
	s_addc_u32 s3, s13, s3
	s_load_dwordx2 s[6:7], s[2:3], 0x0
	s_load_dwordx2 s[12:13], s[0:1], 0x20
	s_mov_b32 s2, 0x4ec4ec5
                                        ; implicit-def: $vgpr74
                                        ; implicit-def: $vgpr66
                                        ; implicit-def: $vgpr67
                                        ; implicit-def: $vgpr64
                                        ; implicit-def: $vgpr54
                                        ; implicit-def: $vgpr55
                                        ; implicit-def: $vgpr56
                                        ; implicit-def: $vgpr57
                                        ; implicit-def: $vgpr58
	s_waitcnt lgkmcnt(0)
	v_mul_lo_u32 v1, s6, v9
	v_mul_lo_u32 v4, s7, v8
	v_mad_u64_u32 v[2:3], s[0:1], s6, v8, v[2:3]
	v_add3_u32 v3, v4, v3, v1
	v_mul_hi_u32 v1, v0, s2
	v_mul_u32_u24_e32 v1, 52, v1
	v_sub_u32_e32 v76, v0, v1
	v_cmp_gt_u64_e32 vcc, s[12:13], v[8:9]
	v_cmp_le_u64_e64 s[0:1], s[12:13], v[8:9]
	v_add_u32_e32 v77, 52, v76
                                        ; implicit-def: $sgpr2_sgpr3
	s_and_saveexec_b64 s[6:7], s[0:1]
	s_xor_b64 s[0:1], exec, s[6:7]
; %bb.10:
	v_add_u32_e32 v74, 52, v76
	v_add_u32_e32 v66, 0x68, v76
	;; [unrolled: 1-line block ×9, first 2 shown]
	s_mov_b64 s[2:3], 0
; %bb.11:
	s_or_saveexec_b64 s[0:1], s[0:1]
	v_mov_b64_e32 v[0:1], s[2:3]
	v_lshl_add_u64 v[8:9], v[2:3], 3, s[10:11]
	v_mov_b64_e32 v[2:3], s[2:3]
	v_mov_b64_e32 v[6:7], s[2:3]
	;; [unrolled: 1-line block ×12, first 2 shown]
                                        ; implicit-def: $vgpr28
                                        ; implicit-def: $vgpr26
                                        ; implicit-def: $vgpr30
                                        ; implicit-def: $vgpr32
                                        ; implicit-def: $vgpr38
                                        ; implicit-def: $vgpr36
                                        ; implicit-def: $vgpr46
                                        ; implicit-def: $vgpr44
                                        ; implicit-def: $vgpr48
                                        ; implicit-def: $vgpr52
                                        ; implicit-def: $vgpr50
                                        ; implicit-def: $vgpr40
                                        ; implicit-def: $vgpr34
	s_xor_b64 exec, exec, s[0:1]
	s_cbranch_execz .LBB0_13
; %bb.12:
	v_mad_u64_u32 v[0:1], s[2:3], s8, v76, 0
	v_mov_b32_e32 v2, v1
	v_mad_u64_u32 v[2:3], s[2:3], s9, v76, v[2:3]
	v_add_u32_e32 v5, 0x2a4, v76
	v_mov_b32_e32 v1, v2
	v_mad_u64_u32 v[2:3], s[2:3], s8, v5, 0
	v_mov_b32_e32 v4, v3
	v_mad_u64_u32 v[4:5], s[2:3], s9, v5, v[4:5]
	;; [unrolled: 2-line block ×4, first 2 shown]
	v_add_u32_e32 v11, 0x2d8, v76
	v_mov_b32_e32 v5, v6
	v_mad_u64_u32 v[6:7], s[2:3], s8, v11, 0
	v_mov_b32_e32 v10, v7
	v_mad_u64_u32 v[10:11], s[2:3], s9, v11, v[10:11]
	v_add_u32_e32 v66, 0x68, v76
	v_mov_b32_e32 v7, v10
	v_mad_u64_u32 v[10:11], s[2:3], s8, v66, 0
	v_mov_b32_e32 v12, v11
	v_mad_u64_u32 v[12:13], s[2:3], s9, v66, v[12:13]
	;; [unrolled: 5-line block ×4, first 2 shown]
	v_or_b32_e32 v19, 0x340, v76
	v_mov_b32_e32 v15, v16
	v_mad_u64_u32 v[16:17], s[2:3], s8, v19, 0
	v_mov_b32_e32 v18, v17
	v_mad_u64_u32 v[18:19], s[2:3], s9, v19, v[18:19]
	v_add_u32_e32 v64, 0xd0, v76
	v_mov_b32_e32 v17, v18
	v_mad_u64_u32 v[18:19], s[2:3], s8, v64, 0
	v_mov_b32_e32 v20, v19
	v_mad_u64_u32 v[20:21], s[2:3], s9, v64, v[20:21]
	v_add_u32_e32 v23, 0x374, v76
	;; [unrolled: 5-line block ×4, first 2 shown]
	v_mov_b32_e32 v23, v24
	v_mad_u64_u32 v[24:25], s[2:3], s8, v27, 0
	v_mov_b32_e32 v26, v25
	v_add_u32_e32 v55, 0x138, v76
	v_mad_u64_u32 v[26:27], s[2:3], s9, v27, v[26:27]
	v_mad_u64_u32 v[36:37], s[2:3], s8, v55, 0
	v_mov_b32_e32 v25, v26
	v_mov_b32_e32 v26, v37
	v_mad_u64_u32 v[26:27], s[2:3], s9, v55, v[26:27]
	v_add_u32_e32 v27, 0x3dc, v76
	v_mad_u64_u32 v[38:39], s[2:3], s8, v27, 0
	v_mov_b32_e32 v37, v26
	v_mov_b32_e32 v26, v39
	v_mad_u64_u32 v[26:27], s[2:3], s9, v27, v[26:27]
	v_add_u32_e32 v27, 0x16c, v76
	v_mad_u64_u32 v[42:43], s[2:3], s8, v27, 0
	v_mov_b32_e32 v39, v26
	v_mov_b32_e32 v26, v43
	v_mad_u64_u32 v[26:27], s[2:3], s9, v27, v[26:27]
	v_add_u32_e32 v27, 0x410, v76
	v_mad_u64_u32 v[44:45], s[2:3], s8, v27, 0
	v_mov_b32_e32 v43, v26
	v_mov_b32_e32 v26, v45
	v_add_u32_e32 v56, 0x1a0, v76
	v_mad_u64_u32 v[26:27], s[2:3], s9, v27, v[26:27]
	v_mad_u64_u32 v[46:47], s[2:3], s8, v56, 0
	v_mov_b32_e32 v45, v26
	v_mov_b32_e32 v26, v47
	v_mad_u64_u32 v[26:27], s[2:3], s9, v56, v[26:27]
	v_add_u32_e32 v27, 0x444, v76
	v_mad_u64_u32 v[48:49], s[2:3], s8, v27, 0
	v_mov_b32_e32 v47, v26
	v_mov_b32_e32 v26, v49
	v_mad_u64_u32 v[26:27], s[2:3], s9, v27, v[26:27]
	v_add_u32_e32 v27, 0x1d4, v76
	v_mad_u64_u32 v[50:51], s[2:3], s8, v27, 0
	v_mov_b32_e32 v49, v26
	v_mov_b32_e32 v26, v51
	v_mad_u64_u32 v[26:27], s[2:3], s9, v27, v[26:27]
	v_add_u32_e32 v27, 0x478, v76
	v_mad_u64_u32 v[52:53], s[2:3], s8, v27, 0
	v_mov_b32_e32 v51, v26
	;; [unrolled: 20-line block ×3, first 2 shown]
	v_mov_b32_e32 v26, v71
	v_add_u32_e32 v58, 0x270, v76
	v_mad_u64_u32 v[26:27], s[2:3], s9, v27, v[26:27]
	v_mad_u64_u32 v[72:73], s[2:3], s8, v58, 0
	v_mov_b32_e32 v71, v26
	v_mov_b32_e32 v26, v73
	v_mad_u64_u32 v[26:27], s[2:3], s9, v58, v[26:27]
	v_add_u32_e32 v27, 0x514, v76
	v_mad_u64_u32 v[74:75], s[2:3], s8, v27, 0
	v_mov_b32_e32 v73, v26
	v_mov_b32_e32 v26, v75
	v_mad_u64_u32 v[26:27], s[2:3], s9, v27, v[26:27]
	v_lshl_add_u64 v[30:31], v[0:1], 3, v[8:9]
	v_lshl_add_u64 v[4:5], v[4:5], 3, v[8:9]
	;; [unrolled: 1-line block ×5, first 2 shown]
	v_mov_b32_e32 v75, v26
	v_lshl_add_u64 v[32:33], v[2:3], 3, v[8:9]
	global_load_dwordx2 v[0:1], v[30:31], off
	global_load_dwordx2 v[28:29], v[32:33], off
	;; [unrolled: 1-line block ×4, first 2 shown]
	v_lshl_add_u64 v[12:13], v[12:13], 3, v[8:9]
	v_lshl_add_u64 v[16:17], v[16:17], 3, v[8:9]
	global_load_dwordx2 v[6:7], v[10:11], off
	global_load_dwordx2 v[30:31], v[12:13], off
	global_load_dwordx2 v[4:5], v[14:15], off
	global_load_dwordx2 v[34:35], v[16:17], off
	v_lshl_add_u64 v[14:15], v[18:19], 3, v[8:9]
	v_lshl_add_u64 v[18:19], v[22:23], 3, v[8:9]
	v_lshl_add_u64 v[16:17], v[20:21], 3, v[8:9]
	v_lshl_add_u64 v[20:21], v[24:25], 3, v[8:9]
	global_load_dwordx2 v[12:13], v[14:15], off
	global_load_dwordx2 v[32:33], v[16:17], off
	global_load_dwordx2 v[10:11], v[18:19], off
	global_load_dwordx2 v[40:41], v[20:21], off
	v_lshl_add_u64 v[18:19], v[36:37], 3, v[8:9]
	v_lshl_add_u64 v[22:23], v[42:43], 3, v[8:9]
	;; [unrolled: 8-line block ×5, first 2 shown]
	global_load_dwordx2 v[42:43], v[60:61], off
	global_load_dwordx2 v[52:53], v[62:63], off
	v_mov_b32_e32 v74, v77
.LBB0_13:
	s_or_b64 exec, exec, s[0:1]
	s_waitcnt vmcnt(24)
	v_sub_f32_e32 v63, v1, v29
	s_waitcnt vmcnt(22)
	v_sub_f32_e32 v69, v3, v27
	;; [unrolled: 2-line block ×4, first 2 shown]
	v_sub_f32_e32 v61, v0, v28
	v_fma_f32 v62, v1, 2.0, -v63
	v_sub_f32_e32 v1, v2, v26
	v_fma_f32 v68, v3, 2.0, -v69
	;; [unrolled: 2-line block ×4, first 2 shown]
	s_waitcnt vmcnt(16)
	v_sub_f32_e32 v5, v12, v32
	v_sub_f32_e32 v79, v13, v33
	s_waitcnt vmcnt(14)
	v_sub_f32_e32 v41, v11, v41
	s_waitcnt vmcnt(12)
	v_sub_f32_e32 v39, v17, v39
	v_fma_f32 v60, v0, 2.0, -v61
	v_fma_f32 v0, v2, 2.0, -v1
	;; [unrolled: 1-line block ×6, first 2 shown]
	v_sub_f32_e32 v13, v10, v40
	v_fma_f32 v40, v11, 2.0, -v41
	v_sub_f32_e32 v11, v16, v38
	v_fma_f32 v38, v17, 2.0, -v39
	s_waitcnt vmcnt(10)
	v_sub_f32_e32 v17, v14, v36
	v_sub_f32_e32 v81, v15, v37
	s_waitcnt vmcnt(8)
	v_sub_f32_e32 v83, v21, v47
	s_waitcnt vmcnt(6)
	;; [unrolled: 2-line block ×4, first 2 shown]
	v_sub_f32_e32 v89, v23, v51
	v_lshl_add_u32 v35, v76, 3, 0
	v_lshl_add_u32 v36, v74, 3, 0
	;; [unrolled: 1-line block ×5, first 2 shown]
	v_fma_f32 v12, v10, 2.0, -v13
	v_fma_f32 v80, v15, 2.0, -v81
	v_sub_f32_e32 v15, v20, v46
	v_fma_f32 v82, v21, 2.0, -v83
	v_sub_f32_e32 v21, v18, v44
	;; [unrolled: 2-line block ×4, first 2 shown]
	v_fma_f32 v88, v23, 2.0, -v89
	s_waitcnt vmcnt(0)
	v_sub_f32_e32 v23, v42, v52
	ds_write_b64 v35, v[60:61]
	ds_write_b64 v36, v[0:1]
	;; [unrolled: 1-line block ×5, first 2 shown]
	v_lshl_add_u32 v4, v54, 3, 0
	v_fma_f32 v10, v16, 2.0, -v11
	v_fma_f32 v16, v14, 2.0, -v17
	;; [unrolled: 1-line block ×7, first 2 shown]
	ds_write_b64 v4, v[12:13]
	v_lshl_add_u32 v42, v55, 3, 0
	v_lshl_add_u32 v12, v56, 3, 0
	v_lshlrev_b32_e32 v2, 2, v56
	v_sub_f32_e32 v53, v43, v53
	ds_write_b64 v42, v[10:11]
	ds_write_b64 v35, v[16:17] offset:2912
	ds_write_b64 v12, v[14:15]
	ds_write_b64 v35, v[20:21] offset:3744
	v_lshl_add_u32 v14, v57, 3, 0
	v_lshl_add_u32 v5, v76, 2, 0
	v_lshlrev_b32_e32 v47, 2, v55
	v_sub_u32_e32 v30, v12, v2
	v_lshlrev_b32_e32 v2, 2, v57
	v_fma_f32 v52, v43, 2.0, -v53
	v_lshl_add_u32 v15, v58, 3, 0
	v_lshlrev_b32_e32 v43, 2, v66
	v_lshlrev_b32_e32 v46, 2, v64
	v_sub_u32_e32 v29, v42, v47
	v_sub_u32_e32 v31, v14, v2
	v_lshlrev_b32_e32 v2, 2, v58
	v_add_u32_e32 v49, 0x800, v5
	v_add_u32_e32 v44, 0xc00, v5
	;; [unrolled: 1-line block ×6, first 2 shown]
	ds_write_b64 v14, v[18:19]
	ds_write_b64 v35, v[24:25] offset:4576
	ds_write_b64 v15, v[22:23]
	s_waitcnt lgkmcnt(0)
	; wave barrier
	s_waitcnt lgkmcnt(0)
	ds_read2_b32 v[0:1], v5 offset1:156
	v_sub_u32_e32 v32, v37, v43
	v_sub_u32_e32 v48, v33, v46
	;; [unrolled: 1-line block ×3, first 2 shown]
	ds_read2_b32 v[6:7], v49 offset0:164 offset1:216
	ds_read2_b32 v[10:11], v44 offset0:12 offset1:64
	;; [unrolled: 1-line block ×6, first 2 shown]
	v_lshl_add_u32 v45, v74, 2, 0
	ds_read_b32 v23, v29
	ds_read_b32 v65, v30
	;; [unrolled: 1-line block ×4, first 2 shown]
	ds_read_b32 v103, v5 offset:5200
	ds_read_b32 v104, v48
	ds_read_b32 v105, v32
	;; [unrolled: 1-line block ×3, first 2 shown]
	ds_read2_b32 v[20:21], v27 offset0:4 offset1:108
	ds_read2_b32 v[92:93], v28 offset0:84 offset1:188
	s_waitcnt lgkmcnt(0)
	; wave barrier
	s_waitcnt lgkmcnt(0)
	ds_write_b64 v35, v[62:63]
	ds_write_b64 v36, v[68:69]
	;; [unrolled: 1-line block ×7, first 2 shown]
	ds_write_b64 v35, v[80:81] offset:2912
	ds_write_b64 v12, v[82:83]
	ds_write_b64 v35, v[84:85] offset:3744
	ds_write_b64 v14, v[86:87]
	;; [unrolled: 2-line block ×3, first 2 shown]
	v_and_b32_e32 v4, 1, v76
	v_mul_u32_u24_e32 v12, 12, v4
	v_lshlrev_b32_e32 v12, 3, v12
	s_waitcnt lgkmcnt(0)
	; wave barrier
	s_waitcnt lgkmcnt(0)
	global_load_dwordx4 v[14:17], v12, s[4:5]
	global_load_dwordx4 v[38:41], v12, s[4:5] offset:16
	global_load_dwordx4 v[56:59], v12, s[4:5] offset:32
	;; [unrolled: 1-line block ×5, first 2 shown]
	ds_read2_b32 v[72:73], v5 offset1:156
	ds_read_b32 v12, v29
	ds_read_b32 v35, v30
	;; [unrolled: 1-line block ×4, first 2 shown]
	ds_read2_b32 v[82:83], v49 offset0:164 offset1:216
	ds_read2_b32 v[84:85], v44 offset0:12 offset1:64
	;; [unrolled: 1-line block ×6, first 2 shown]
	ds_read_b32 v52, v48
	ds_read_b32 v53, v32
	;; [unrolled: 1-line block ×3, first 2 shown]
	ds_read2_b32 v[98:99], v27 offset0:4 offset1:108
	ds_read2_b32 v[100:101], v28 offset0:84 offset1:188
	ds_read_b32 v106, v5 offset:5200
	s_mov_b32 s2, 0x3f62ad3f
	s_mov_b32 s6, 0x3df6dbef
	;; [unrolled: 1-line block ×6, first 2 shown]
	s_waitcnt lgkmcnt(0)
	; wave barrier
	s_waitcnt lgkmcnt(0)
	v_cmp_gt_u32_e64 s[0:1], 26, v76
	s_movk_i32 s10, 0x4f
	s_mov_b32 s24, 0xbeedf032
	s_mov_b32 s25, 0xbf52af12
	;; [unrolled: 1-line block ×13, first 2 shown]
	s_waitcnt vmcnt(5)
	v_mul_f32_e32 v107, v53, v15
	v_fma_f32 v107, v105, v14, -v107
	v_mul_f32_e32 v105, v105, v15
	v_fmac_f32_e32 v105, v53, v14
	v_mul_f32_e32 v53, v52, v17
	v_fma_f32 v53, v104, v16, -v53
	v_mul_f32_e32 v104, v104, v17
	s_waitcnt vmcnt(4)
	v_mul_f32_e32 v109, v23, v39
	v_fmac_f32_e32 v104, v52, v16
	v_mul_f32_e32 v52, v12, v39
	v_fmac_f32_e32 v109, v12, v38
	v_mul_f32_e32 v12, v35, v41
	v_fma_f32 v110, v65, v40, -v12
	s_waitcnt vmcnt(3)
	v_mul_f32_e32 v12, v36, v57
	v_fma_f32 v111, v75, v56, -v12
	v_mul_f32_e32 v12, v51, v59
	v_fma_f32 v112, v102, v58, -v12
	s_waitcnt vmcnt(2)
	v_mul_f32_e32 v12, v83, v61
	v_fma_f32 v113, v7, v60, -v12
	v_mul_f32_e32 v114, v7, v61
	v_mul_f32_e32 v7, v85, v63
	v_fmac_f32_e32 v114, v83, v60
	v_fma_f32 v83, v11, v62, -v7
	v_mul_f32_e32 v115, v11, v63
	s_waitcnt vmcnt(1)
	v_mul_f32_e32 v7, v87, v69
	v_fmac_f32_e32 v115, v85, v62
	v_fma_f32 v85, v19, v68, -v7
	v_mul_f32_e32 v116, v19, v69
	v_mul_f32_e32 v7, v89, v71
	v_fmac_f32_e32 v116, v87, v68
	v_fma_f32 v87, v25, v70, -v7
	v_mul_f32_e32 v117, v25, v71
	s_waitcnt vmcnt(0)
	v_mul_f32_e32 v7, v95, v79
	v_fmac_f32_e32 v117, v89, v70
	v_fma_f32 v89, v91, v78, -v7
	v_mul_f32_e32 v91, v91, v79
	v_mul_f32_e32 v7, v97, v81
	;; [unrolled: 1-line block ×3, first 2 shown]
	v_fmac_f32_e32 v91, v95, v78
	v_fma_f32 v95, v3, v80, -v7
	v_mul_f32_e32 v118, v3, v81
	v_mul_f32_e32 v3, v73, v15
	v_fma_f32 v108, v23, v38, -v52
	v_fmac_f32_e32 v102, v51, v58
	v_fma_f32 v51, v1, v14, -v3
	v_mul_f32_e32 v52, v1, v15
	v_mul_f32_e32 v1, v98, v17
	;; [unrolled: 1-line block ×3, first 2 shown]
	v_fma_f32 v25, v20, v16, -v1
	v_mul_f32_e32 v1, v99, v39
	v_fmac_f32_e32 v65, v35, v40
	v_mul_f32_e32 v35, v20, v17
	v_fma_f32 v20, v21, v38, -v1
	v_mul_f32_e32 v1, v100, v41
	v_fmac_f32_e32 v35, v98, v16
	v_fma_f32 v16, v92, v40, -v1
	v_mul_f32_e32 v1, v101, v57
	v_fma_f32 v11, v93, v56, -v1
	v_mul_f32_e32 v1, v82, v59
	;; [unrolled: 2-line block ×4, first 2 shown]
	v_fmac_f32_e32 v52, v73, v14
	v_fma_f32 v14, v18, v62, -v1
	v_mul_f32_e32 v1, v88, v69
	v_mul_f32_e32 v15, v18, v63
	v_fma_f32 v18, v24, v68, -v1
	v_mul_f32_e32 v1, v94, v71
	v_mul_f32_e32 v75, v75, v57
	v_fma_f32 v23, v90, v70, -v1
	v_mul_f32_e32 v1, v96, v79
	v_fmac_f32_e32 v75, v36, v56
	v_mul_f32_e32 v21, v21, v39
	v_fma_f32 v36, v2, v78, -v1
	v_mul_f32_e32 v1, v106, v81
	v_fmac_f32_e32 v21, v99, v38
	v_mul_f32_e32 v38, v2, v79
	v_fma_f32 v63, v103, v80, -v1
	v_add_f32_e32 v1, v0, v107
	v_add_f32_e32 v2, v72, v105
	;; [unrolled: 1-line block ×18, first 2 shown]
	v_fmac_f32_e32 v118, v97, v80
	v_mul_f32_e32 v12, v93, v57
	v_mul_f32_e32 v19, v24, v69
	v_add_f32_e32 v1, v1, v87
	v_add_f32_e32 v2, v2, v117
	v_fmac_f32_e32 v12, v101, v56
	v_fmac_f32_e32 v19, v88, v68
	v_mul_f32_e32 v68, v103, v81
	v_add_f32_e32 v1, v1, v89
	v_add_f32_e32 v39, v2, v91
	v_sub_f32_e32 v56, v105, v118
	v_mul_f32_e32 v17, v92, v41
	v_mul_f32_e32 v6, v6, v59
	;; [unrolled: 1-line block ×3, first 2 shown]
	v_fmac_f32_e32 v15, v86, v62
	v_mul_f32_e32 v24, v90, v71
	v_fmac_f32_e32 v68, v106, v80
	v_add_f32_e32 v2, v1, v95
	v_add_f32_e32 v1, v39, v118
	;; [unrolled: 1-line block ×3, first 2 shown]
	v_sub_f32_e32 v41, v107, v95
	v_mul_f32_e32 v57, 0xbeedf032, v56
	v_mul_f32_e32 v61, 0xbf52af12, v56
	;; [unrolled: 1-line block ×6, first 2 shown]
	v_fmac_f32_e32 v17, v100, v40
	v_fmac_f32_e32 v6, v82, v58
	v_fmac_f32_e32 v38, v96, v78
	v_add_f32_e32 v40, v105, v118
	v_fma_f32 v58, v39, s2, -v57
	v_mul_f32_e32 v59, 0xbeedf032, v41
	v_fmac_f32_e32 v57, 0x3f62ad3f, v39
	v_fma_f32 v62, v39, s3, -v61
	v_mul_f32_e32 v69, 0xbf52af12, v41
	v_fmac_f32_e32 v61, 0x3f116cb1, v39
	;; [unrolled: 3-line block ×6, first 2 shown]
	v_fmac_f32_e32 v10, v84, v60
	v_fmac_f32_e32 v24, v94, v70
	v_add_f32_e32 v58, v0, v58
	v_fmamk_f32 v60, v40, 0x3f62ad3f, v59
	v_add_f32_e32 v57, v0, v57
	v_fma_f32 v59, v40, s2, -v59
	v_add_f32_e32 v62, v0, v62
	v_fmamk_f32 v70, v40, 0x3f116cb1, v69
	v_add_f32_e32 v61, v0, v61
	v_fma_f32 v69, v40, s3, -v69
	;; [unrolled: 4-line block ×6, first 2 shown]
	v_sub_f32_e32 v56, v104, v91
	v_add_f32_e32 v60, v72, v60
	v_add_f32_e32 v59, v72, v59
	;; [unrolled: 1-line block ×13, first 2 shown]
	v_mul_f32_e32 v72, 0xbf52af12, v56
	v_sub_f32_e32 v53, v53, v89
	v_fma_f32 v89, v40, s3, -v72
	v_add_f32_e32 v41, v104, v91
	v_add_f32_e32 v58, v89, v58
	v_mul_f32_e32 v89, 0xbf52af12, v53
	v_fmac_f32_e32 v72, 0x3f116cb1, v40
	v_add_f32_e32 v57, v72, v57
	v_fma_f32 v72, v41, s3, -v89
	v_add_f32_e32 v59, v72, v59
	v_mul_f32_e32 v72, 0xbf6f5d39, v56
	v_fmamk_f32 v91, v41, 0x3f116cb1, v89
	v_fma_f32 v89, v40, s11, -v72
	v_add_f32_e32 v62, v89, v62
	v_mul_f32_e32 v89, 0xbf6f5d39, v53
	v_fmac_f32_e32 v72, 0xbeb58ec6, v40
	v_add_f32_e32 v61, v72, v61
	v_fma_f32 v72, v41, s11, -v89
	v_add_f32_e32 v69, v72, v69
	v_mul_f32_e32 v72, 0xbe750f2a, v56
	v_add_f32_e32 v60, v91, v60
	v_fmamk_f32 v91, v41, 0xbeb58ec6, v89
	v_fma_f32 v89, v40, s7, -v72
	v_add_f32_e32 v73, v89, v73
	v_mul_f32_e32 v89, 0xbe750f2a, v53
	v_fmac_f32_e32 v72, 0xbf788fa5, v40
	v_add_f32_e32 v71, v72, v71
	v_fma_f32 v72, v41, s7, -v89
	v_add_f32_e32 v72, v72, v78
	v_mul_f32_e32 v78, 0x3f29c268, v56
	v_add_f32_e32 v70, v91, v70
	;; [unrolled: 10-line block ×3, first 2 shown]
	v_fmamk_f32 v91, v41, 0xbf3f9e67, v89
	v_fma_f32 v89, v40, s6, -v82
	v_add_f32_e32 v88, v89, v88
	v_mul_f32_e32 v89, 0x3f7e222b, v53
	v_fmac_f32_e32 v82, 0x3df6dbef, v40
	v_mul_f32_e32 v56, 0x3eedf032, v56
	v_add_f32_e32 v84, v91, v84
	v_fmamk_f32 v91, v41, 0x3df6dbef, v89
	v_add_f32_e32 v82, v82, v86
	v_fma_f32 v86, v41, s6, -v89
	v_fma_f32 v89, v40, s2, -v56
	v_mul_f32_e32 v53, 0x3eedf032, v53
	v_fmac_f32_e32 v56, 0x3f62ad3f, v40
	v_add_f32_e32 v0, v56, v0
	v_fma_f32 v40, v41, s2, -v53
	v_sub_f32_e32 v56, v109, v117
	v_add_f32_e32 v86, v86, v90
	v_fmamk_f32 v90, v41, 0x3f62ad3f, v53
	v_add_f32_e32 v39, v40, v39
	v_add_f32_e32 v40, v108, v87
	v_sub_f32_e32 v53, v108, v87
	v_mul_f32_e32 v87, 0xbf7e222b, v56
	v_add_f32_e32 v91, v91, v92
	v_fma_f32 v92, v40, s6, -v87
	v_add_f32_e32 v41, v109, v117
	v_add_f32_e32 v58, v92, v58
	v_mul_f32_e32 v92, 0xbf7e222b, v53
	v_fmac_f32_e32 v87, 0x3df6dbef, v40
	v_add_f32_e32 v57, v87, v57
	v_fma_f32 v87, v41, s6, -v92
	v_add_f32_e32 v59, v87, v59
	v_mul_f32_e32 v87, 0xbe750f2a, v56
	v_add_f32_e32 v89, v89, v93
	v_fmamk_f32 v93, v41, 0x3df6dbef, v92
	v_fma_f32 v92, v40, s7, -v87
	v_add_f32_e32 v62, v92, v62
	v_mul_f32_e32 v92, 0xbe750f2a, v53
	v_fmac_f32_e32 v87, 0xbf788fa5, v40
	v_add_f32_e32 v61, v87, v61
	v_fma_f32 v87, v41, s7, -v92
	v_add_f32_e32 v69, v87, v69
	v_mul_f32_e32 v87, 0x3f6f5d39, v56
	v_add_f32_e32 v60, v93, v60
	v_fmamk_f32 v93, v41, 0xbf788fa5, v92
	v_fma_f32 v92, v40, s11, -v87
	;; [unrolled: 10-line block ×4, first 2 shown]
	v_add_f32_e32 v88, v92, v88
	v_mul_f32_e32 v92, 0xbf52af12, v53
	v_fmac_f32_e32 v87, 0x3f116cb1, v40
	v_add_f32_e32 v82, v87, v82
	v_fma_f32 v87, v41, s3, -v92
	v_mul_f32_e32 v56, 0xbf29c268, v56
	v_add_f32_e32 v86, v87, v86
	v_fma_f32 v87, v40, s13, -v56
	v_mul_f32_e32 v53, 0xbf29c268, v53
	v_fmac_f32_e32 v56, 0xbf3f9e67, v40
	v_add_f32_e32 v0, v56, v0
	v_fma_f32 v40, v41, s13, -v53
	v_sub_f32_e32 v56, v65, v116
	v_add_f32_e32 v84, v93, v84
	v_fmamk_f32 v93, v41, 0x3f116cb1, v92
	v_add_f32_e32 v87, v87, v89
	v_fmamk_f32 v89, v41, 0xbf3f9e67, v53
	v_add_f32_e32 v39, v40, v39
	v_add_f32_e32 v40, v110, v85
	;; [unrolled: 1-line block ×3, first 2 shown]
	v_mul_f32_e32 v65, 0xbf6f5d39, v56
	v_sub_f32_e32 v53, v110, v85
	v_fma_f32 v85, v40, s11, -v65
	v_add_f32_e32 v58, v85, v58
	v_mul_f32_e32 v85, 0xbf6f5d39, v53
	v_fmac_f32_e32 v65, 0xbeb58ec6, v40
	v_add_f32_e32 v57, v65, v57
	v_fma_f32 v65, v41, s11, -v85
	v_add_f32_e32 v90, v90, v94
	v_add_f32_e32 v59, v65, v59
	v_mul_f32_e32 v65, 0x3f29c268, v56
	v_add_f32_e32 v89, v89, v90
	v_fmamk_f32 v90, v41, 0xbeb58ec6, v85
	v_fma_f32 v85, v40, s13, -v65
	v_add_f32_e32 v62, v85, v62
	v_mul_f32_e32 v85, 0x3f29c268, v53
	v_fmac_f32_e32 v65, 0xbf3f9e67, v40
	v_add_f32_e32 v61, v65, v61
	v_fma_f32 v65, v41, s13, -v85
	v_add_f32_e32 v65, v65, v69
	v_mul_f32_e32 v69, 0x3eedf032, v56
	v_add_f32_e32 v60, v90, v60
	v_fmamk_f32 v90, v41, 0xbf3f9e67, v85
	v_fma_f32 v85, v40, s2, -v69
	v_add_f32_e32 v73, v85, v73
	v_mul_f32_e32 v85, 0x3eedf032, v53
	v_fmac_f32_e32 v69, 0x3f62ad3f, v40
	v_add_f32_e32 v69, v69, v71
	v_fma_f32 v71, v41, s2, -v85
	;; [unrolled: 10-line block ×4, first 2 shown]
	v_mul_f32_e32 v56, 0x3f52af12, v56
	v_add_f32_e32 v82, v82, v86
	v_fma_f32 v86, v40, s3, -v56
	v_mul_f32_e32 v53, 0x3f52af12, v53
	v_fmac_f32_e32 v56, 0x3f116cb1, v40
	v_add_f32_e32 v0, v56, v0
	v_fma_f32 v40, v41, s3, -v53
	v_sub_f32_e32 v56, v75, v115
	v_add_f32_e32 v84, v90, v84
	v_fmamk_f32 v90, v41, 0xbf788fa5, v88
	v_add_f32_e32 v86, v86, v87
	v_fmamk_f32 v87, v41, 0x3f116cb1, v53
	v_add_f32_e32 v39, v40, v39
	v_add_f32_e32 v40, v111, v83
	;; [unrolled: 1-line block ×3, first 2 shown]
	v_mul_f32_e32 v75, 0xbf29c268, v56
	v_sub_f32_e32 v53, v111, v83
	v_fma_f32 v83, v40, s13, -v75
	v_add_f32_e32 v58, v83, v58
	v_mul_f32_e32 v83, 0xbf29c268, v53
	v_fmac_f32_e32 v75, 0xbf3f9e67, v40
	v_add_f32_e32 v57, v75, v57
	v_fma_f32 v75, v41, s13, -v83
	v_add_f32_e32 v59, v75, v59
	v_mul_f32_e32 v75, 0x3f7e222b, v56
	v_fmamk_f32 v88, v41, 0xbf3f9e67, v83
	v_fma_f32 v83, v40, s6, -v75
	v_add_f32_e32 v83, v83, v62
	v_mul_f32_e32 v62, 0x3f7e222b, v53
	v_fmac_f32_e32 v75, 0x3df6dbef, v40
	v_add_f32_e32 v75, v75, v61
	v_fma_f32 v61, v41, s6, -v62
	v_add_f32_e32 v65, v61, v65
	v_mul_f32_e32 v61, 0xbf52af12, v56
	v_add_f32_e32 v60, v88, v60
	v_fmamk_f32 v88, v41, 0x3df6dbef, v62
	v_fma_f32 v62, v40, s3, -v61
	v_add_f32_e32 v73, v62, v73
	v_mul_f32_e32 v62, 0xbf52af12, v53
	v_fmac_f32_e32 v61, 0x3f116cb1, v40
	v_add_f32_e32 v69, v61, v69
	v_fma_f32 v61, v41, s3, -v62
	v_add_f32_e32 v71, v61, v71
	v_mul_f32_e32 v61, 0x3e750f2a, v56
	v_add_f32_e32 v70, v88, v70
	;; [unrolled: 10-line block ×3, first 2 shown]
	v_fmamk_f32 v88, v41, 0xbf788fa5, v62
	v_fma_f32 v62, v40, s2, -v61
	v_add_f32_e32 v85, v62, v85
	v_mul_f32_e32 v62, 0x3eedf032, v53
	v_fmac_f32_e32 v61, 0x3f62ad3f, v40
	v_add_f32_e32 v80, v61, v80
	v_fma_f32 v61, v41, s2, -v62
	v_mul_f32_e32 v56, 0xbf6f5d39, v56
	v_add_f32_e32 v91, v93, v91
	v_add_f32_e32 v82, v61, v82
	v_fma_f32 v61, v40, s11, -v56
	v_mul_f32_e32 v53, 0xbf6f5d39, v53
	v_fmac_f32_e32 v56, 0xbeb58ec6, v40
	v_add_f32_e32 v90, v90, v91
	v_add_f32_e32 v87, v87, v89
	;; [unrolled: 1-line block ×3, first 2 shown]
	v_fmamk_f32 v88, v41, 0x3f62ad3f, v62
	v_add_f32_e32 v89, v56, v0
	v_fma_f32 v0, v41, s11, -v53
	v_sub_f32_e32 v94, v102, v114
	v_add_f32_e32 v88, v88, v90
	v_add_f32_e32 v90, v0, v39
	;; [unrolled: 1-line block ×3, first 2 shown]
	v_sub_f32_e32 v93, v112, v113
	v_mul_f32_e32 v0, 0xbe750f2a, v94
	v_add_f32_e32 v86, v61, v86
	v_fmamk_f32 v61, v41, 0xbeb58ec6, v53
	v_add_f32_e32 v92, v102, v114
	v_fma_f32 v39, v91, s7, -v0
	v_mul_f32_e32 v40, 0xbe750f2a, v93
	v_fmac_f32_e32 v0, 0xbf788fa5, v91
	v_mul_f32_e32 v41, 0x3eedf032, v94
	v_add_f32_e32 v87, v61, v87
	v_add_f32_e32 v61, v39, v58
	v_fmamk_f32 v39, v92, 0xbf788fa5, v40
	v_add_f32_e32 v62, v0, v57
	v_fma_f32 v0, v92, s7, -v40
	v_fma_f32 v40, v91, s2, -v41
	v_mul_f32_e32 v53, 0x3eedf032, v93
	v_add_f32_e32 v83, v40, v83
	v_fmamk_f32 v40, v92, 0x3f62ad3f, v53
	v_fmac_f32_e32 v41, 0x3f62ad3f, v91
	v_mul_f32_e32 v56, 0xbf29c268, v94
	v_add_f32_e32 v40, v40, v70
	v_add_f32_e32 v70, v41, v75
	v_fma_f32 v41, v92, s2, -v53
	v_fma_f32 v53, v91, s13, -v56
	v_mul_f32_e32 v57, 0xbf29c268, v93
	v_fmac_f32_e32 v56, 0xbf3f9e67, v91
	v_mul_f32_e32 v58, 0x3f52af12, v94
	v_add_f32_e32 v39, v39, v60
	v_add_f32_e32 v0, v0, v59
	;; [unrolled: 1-line block ×4, first 2 shown]
	v_fmamk_f32 v53, v92, 0xbf3f9e67, v57
	v_add_f32_e32 v69, v56, v69
	v_fma_f32 v56, v92, s13, -v57
	v_fma_f32 v57, v91, s3, -v58
	v_mul_f32_e32 v59, 0x3f52af12, v93
	v_fmac_f32_e32 v58, 0x3f116cb1, v91
	v_mul_f32_e32 v60, 0xbf6f5d39, v94
	v_add_f32_e32 v56, v56, v71
	v_add_f32_e32 v71, v57, v81
	v_fmamk_f32 v57, v92, 0x3f116cb1, v59
	v_add_f32_e32 v72, v58, v72
	v_fma_f32 v58, v92, s3, -v59
	v_fma_f32 v59, v91, s11, -v60
	v_mul_f32_e32 v75, 0xbf6f5d39, v93
	v_fmac_f32_e32 v60, 0xbeb58ec6, v91
	v_add_f32_e32 v58, v58, v78
	v_add_f32_e32 v78, v60, v80
	v_fma_f32 v60, v92, s11, -v75
	v_add_f32_e32 v60, v60, v82
	v_add_f32_e32 v82, v13, v51
	;; [unrolled: 1-line block ×18, first 2 shown]
	v_fmamk_f32 v59, v92, 0xbeb58ec6, v75
	v_mul_f32_e32 v75, 0x3f7e222b, v94
	v_add_f32_e32 v84, v84, v15
	v_add_f32_e32 v82, v82, v18
	;; [unrolled: 1-line block ×3, first 2 shown]
	v_fma_f32 v79, v91, s6, -v75
	v_add_f32_e32 v84, v84, v19
	v_add_f32_e32 v82, v82, v23
	v_add_f32_e32 v79, v79, v86
	v_mul_f32_e32 v80, 0x3f7e222b, v93
	v_fmac_f32_e32 v75, 0x3df6dbef, v91
	v_add_f32_e32 v84, v84, v24
	v_add_f32_e32 v82, v82, v36
	;; [unrolled: 1-line block ×3, first 2 shown]
	v_sub_f32_e32 v52, v52, v68
	v_fmamk_f32 v81, v92, 0x3df6dbef, v80
	v_add_f32_e32 v75, v75, v89
	v_fma_f32 v80, v92, s6, -v80
	v_add_f32_e32 v84, v84, v38
	v_add_f32_e32 v82, v82, v63
	;; [unrolled: 1-line block ×3, first 2 shown]
	v_sub_f32_e32 v51, v51, v63
	v_mul_f32_e32 v63, 0xbeedf032, v52
	v_mul_f32_e32 v89, 0xbf52af12, v52
	;; [unrolled: 1-line block ×6, first 2 shown]
	v_add_f32_e32 v81, v81, v87
	v_add_f32_e32 v80, v80, v90
	;; [unrolled: 1-line block ×3, first 2 shown]
	v_fma_f32 v68, v85, s2, -v63
	v_mul_f32_e32 v87, 0xbeedf032, v51
	v_fmac_f32_e32 v63, 0x3f62ad3f, v85
	v_fma_f32 v90, v85, s3, -v89
	v_mul_f32_e32 v91, 0xbf52af12, v51
	v_fmac_f32_e32 v89, 0x3f116cb1, v85
	;; [unrolled: 3-line block ×6, first 2 shown]
	v_add_f32_e32 v59, v59, v88
	v_add_f32_e32 v68, v13, v68
	v_fmamk_f32 v88, v86, 0x3f62ad3f, v87
	v_add_f32_e32 v63, v13, v63
	v_fma_f32 v87, v86, s2, -v87
	v_add_f32_e32 v90, v13, v90
	v_fmamk_f32 v92, v86, 0x3f116cb1, v91
	v_add_f32_e32 v89, v13, v89
	v_fma_f32 v91, v86, s3, -v91
	;; [unrolled: 4-line block ×6, first 2 shown]
	v_add_f32_e32 v52, v35, v38
	v_sub_f32_e32 v35, v35, v38
	v_add_f32_e32 v88, v22, v88
	v_add_f32_e32 v87, v22, v87
	;; [unrolled: 1-line block ×13, first 2 shown]
	v_sub_f32_e32 v25, v25, v36
	v_mul_f32_e32 v36, 0xbf52af12, v35
	v_fma_f32 v38, v51, s3, -v36
	v_add_f32_e32 v38, v38, v68
	v_mul_f32_e32 v68, 0xbf52af12, v25
	v_fmac_f32_e32 v36, 0x3f116cb1, v51
	v_fmamk_f32 v85, v52, 0x3f116cb1, v68
	v_add_f32_e32 v36, v36, v63
	v_fma_f32 v63, v52, s3, -v68
	v_mul_f32_e32 v68, 0xbf6f5d39, v35
	v_fma_f32 v86, v51, s11, -v68
	v_fmac_f32_e32 v68, 0xbeb58ec6, v51
	v_add_f32_e32 v63, v63, v87
	v_mul_f32_e32 v87, 0xbf6f5d39, v25
	v_add_f32_e32 v68, v68, v89
	v_mul_f32_e32 v89, 0xbe750f2a, v35
	v_add_f32_e32 v85, v85, v88
	v_add_f32_e32 v86, v86, v90
	v_fmamk_f32 v88, v52, 0xbeb58ec6, v87
	v_fma_f32 v87, v52, s11, -v87
	v_fma_f32 v90, v51, s7, -v89
	v_fmac_f32_e32 v89, 0xbf788fa5, v51
	v_add_f32_e32 v87, v87, v91
	v_mul_f32_e32 v91, 0xbe750f2a, v25
	v_add_f32_e32 v89, v89, v93
	v_mul_f32_e32 v93, 0x3f29c268, v35
	v_add_f32_e32 v88, v88, v92
	v_add_f32_e32 v90, v90, v94
	v_fmamk_f32 v92, v52, 0xbf788fa5, v91
	v_fma_f32 v91, v52, s7, -v91
	;; [unrolled: 10-line block ×3, first 2 shown]
	v_fma_f32 v98, v51, s6, -v97
	v_fmac_f32_e32 v97, 0x3df6dbef, v51
	v_mul_f32_e32 v35, 0x3eedf032, v35
	v_add_f32_e32 v95, v95, v99
	v_mul_f32_e32 v99, 0x3f7e222b, v25
	v_add_f32_e32 v97, v97, v101
	v_fma_f32 v101, v51, s2, -v35
	v_mul_f32_e32 v25, 0x3eedf032, v25
	v_fmac_f32_e32 v35, 0x3f62ad3f, v51
	v_add_f32_e32 v98, v98, v102
	v_fmamk_f32 v102, v52, 0x3f62ad3f, v25
	v_add_f32_e32 v13, v35, v13
	v_fma_f32 v25, v52, s2, -v25
	v_add_f32_e32 v35, v21, v24
	v_sub_f32_e32 v21, v21, v24
	v_add_f32_e32 v22, v25, v22
	v_add_f32_e32 v25, v20, v23
	v_sub_f32_e32 v20, v20, v23
	v_mul_f32_e32 v23, 0xbf7e222b, v21
	v_fma_f32 v24, v25, s6, -v23
	v_add_f32_e32 v24, v24, v38
	v_mul_f32_e32 v38, 0xbf7e222b, v20
	v_fmac_f32_e32 v23, 0x3df6dbef, v25
	v_fmamk_f32 v51, v35, 0x3df6dbef, v38
	v_add_f32_e32 v23, v23, v36
	v_fma_f32 v36, v35, s6, -v38
	v_mul_f32_e32 v38, 0xbe750f2a, v21
	v_add_f32_e32 v96, v96, v100
	v_fmamk_f32 v100, v52, 0x3df6dbef, v99
	v_fma_f32 v99, v52, s6, -v99
	v_add_f32_e32 v36, v36, v63
	v_fma_f32 v52, v25, s7, -v38
	v_mul_f32_e32 v63, 0xbe750f2a, v20
	v_fmac_f32_e32 v38, 0xbf788fa5, v25
	v_add_f32_e32 v51, v51, v85
	v_fmamk_f32 v85, v35, 0xbf788fa5, v63
	v_add_f32_e32 v38, v38, v68
	v_fma_f32 v63, v35, s7, -v63
	v_mul_f32_e32 v68, 0x3f6f5d39, v21
	v_add_f32_e32 v52, v52, v86
	v_add_f32_e32 v63, v63, v87
	v_fma_f32 v86, v25, s11, -v68
	v_mul_f32_e32 v87, 0x3f6f5d39, v20
	v_fmac_f32_e32 v68, 0xbeb58ec6, v25
	v_add_f32_e32 v85, v85, v88
	v_fmamk_f32 v88, v35, 0xbeb58ec6, v87
	v_add_f32_e32 v68, v68, v89
	v_fma_f32 v87, v35, s11, -v87
	v_mul_f32_e32 v89, 0x3eedf032, v21
	v_add_f32_e32 v86, v86, v90
	v_add_f32_e32 v87, v87, v91
	v_fma_f32 v90, v25, s2, -v89
	v_mul_f32_e32 v91, 0x3eedf032, v20
	v_fmac_f32_e32 v89, 0x3f62ad3f, v25
	v_add_f32_e32 v88, v88, v92
	v_fmamk_f32 v92, v35, 0x3f62ad3f, v91
	v_add_f32_e32 v89, v89, v93
	v_fma_f32 v91, v35, s2, -v91
	v_mul_f32_e32 v93, 0xbf52af12, v21
	v_add_f32_e32 v90, v90, v94
	v_add_f32_e32 v91, v91, v95
	v_fma_f32 v94, v25, s3, -v93
	v_mul_f32_e32 v95, 0xbf52af12, v20
	v_mul_f32_e32 v20, 0xbf29c268, v20
	v_add_f32_e32 v94, v94, v98
	v_fmac_f32_e32 v93, 0x3f116cb1, v25
	v_mul_f32_e32 v21, 0xbf29c268, v21
	v_fmamk_f32 v98, v35, 0xbf3f9e67, v20
	v_fma_f32 v20, v35, s13, -v20
	v_add_f32_e32 v93, v93, v97
	v_fma_f32 v97, v25, s13, -v21
	v_fmac_f32_e32 v21, 0xbf3f9e67, v25
	v_add_f32_e32 v20, v20, v22
	v_add_f32_e32 v22, v17, v19
	v_sub_f32_e32 v17, v17, v19
	v_add_f32_e32 v13, v21, v13
	v_add_f32_e32 v21, v16, v18
	v_sub_f32_e32 v16, v16, v18
	v_mul_f32_e32 v18, 0xbf6f5d39, v17
	v_fma_f32 v19, v21, s11, -v18
	v_add_f32_e32 v19, v19, v24
	v_mul_f32_e32 v24, 0xbf6f5d39, v16
	v_fmac_f32_e32 v18, 0xbeb58ec6, v21
	v_fmamk_f32 v25, v22, 0xbeb58ec6, v24
	v_add_f32_e32 v18, v18, v23
	v_fma_f32 v23, v22, s11, -v24
	v_mul_f32_e32 v24, 0x3f29c268, v17
	v_add_f32_e32 v92, v92, v96
	v_fmamk_f32 v96, v35, 0x3f116cb1, v95
	v_fma_f32 v95, v35, s3, -v95
	v_add_f32_e32 v23, v23, v36
	v_fma_f32 v35, v21, s13, -v24
	v_mul_f32_e32 v36, 0x3f29c268, v16
	v_fmac_f32_e32 v24, 0xbf3f9e67, v21
	v_add_f32_e32 v25, v25, v51
	v_fmamk_f32 v51, v22, 0xbf3f9e67, v36
	v_add_f32_e32 v24, v24, v38
	v_fma_f32 v36, v22, s13, -v36
	v_mul_f32_e32 v38, 0x3eedf032, v17
	v_add_f32_e32 v35, v35, v52
	v_add_f32_e32 v36, v36, v63
	v_fma_f32 v52, v21, s2, -v38
	v_mul_f32_e32 v63, 0x3eedf032, v16
	v_fmac_f32_e32 v38, 0x3f62ad3f, v21
	v_add_f32_e32 v51, v51, v85
	v_fmamk_f32 v85, v22, 0x3f62ad3f, v63
	v_add_f32_e32 v38, v38, v68
	v_fma_f32 v63, v22, s2, -v63
	v_mul_f32_e32 v68, 0xbf7e222b, v17
	v_add_f32_e32 v52, v52, v86
	v_add_f32_e32 v63, v63, v87
	v_fma_f32 v86, v21, s6, -v68
	v_mul_f32_e32 v87, 0xbf7e222b, v16
	v_fmac_f32_e32 v68, 0x3df6dbef, v21
	v_add_f32_e32 v85, v85, v88
	v_fmamk_f32 v88, v22, 0x3df6dbef, v87
	v_add_f32_e32 v68, v68, v89
	v_fma_f32 v87, v22, s6, -v87
	v_mul_f32_e32 v89, 0x3e750f2a, v17
	v_add_f32_e32 v86, v86, v90
	v_add_f32_e32 v87, v87, v91
	v_fma_f32 v90, v21, s7, -v89
	v_mul_f32_e32 v91, 0x3e750f2a, v16
	v_mul_f32_e32 v16, 0x3f52af12, v16
	v_add_f32_e32 v90, v90, v94
	v_fmac_f32_e32 v89, 0xbf788fa5, v21
	v_mul_f32_e32 v17, 0x3f52af12, v17
	v_fmamk_f32 v94, v22, 0x3f116cb1, v16
	v_fma_f32 v16, v22, s3, -v16
	v_add_f32_e32 v89, v89, v93
	v_fma_f32 v93, v21, s3, -v17
	v_fmac_f32_e32 v17, 0x3f116cb1, v21
	v_add_f32_e32 v16, v16, v20
	;; [unrolled: 60-line block ×3, first 2 shown]
	v_add_f32_e32 v16, v6, v10
	v_sub_f32_e32 v6, v6, v10
	v_add_f32_e32 v12, v12, v13
	v_add_f32_e32 v13, v3, v7
	v_sub_f32_e32 v3, v3, v7
	v_mul_f32_e32 v7, 0xbe750f2a, v6
	v_add_f32_e32 v100, v100, v104
	v_fma_f32 v10, v13, s7, -v7
	v_add_f32_e32 v99, v99, v103
	v_add_f32_e32 v96, v96, v100
	;; [unrolled: 1-line block ×3, first 2 shown]
	v_mul_f32_e32 v15, 0xbe750f2a, v3
	v_fmac_f32_e32 v7, 0xbf788fa5, v13
	v_add_f32_e32 v95, v95, v99
	v_add_f32_e32 v92, v92, v96
	;; [unrolled: 1-line block ×3, first 2 shown]
	v_fmamk_f32 v88, v20, 0x3f62ad3f, v87
	v_add_f32_e32 v7, v7, v14
	v_fma_f32 v14, v16, s7, -v15
	v_add_f32_e32 v102, v102, v106
	v_add_f32_e32 v91, v91, v95
	;; [unrolled: 1-line block ×3, first 2 shown]
	v_fma_f32 v87, v20, s2, -v87
	v_fmamk_f32 v17, v16, 0xbf788fa5, v15
	v_add_f32_e32 v92, v14, v18
	v_mul_f32_e32 v14, 0x3eedf032, v6
	v_add_f32_e32 v101, v101, v105
	v_add_f32_e32 v98, v98, v102
	;; [unrolled: 1-line block ×4, first 2 shown]
	v_fma_f32 v15, v13, s2, -v14
	v_mul_f32_e32 v17, 0x3eedf032, v3
	v_fmac_f32_e32 v14, 0x3f62ad3f, v13
	v_add_f32_e32 v97, v97, v101
	v_add_f32_e32 v94, v94, v98
	v_fmamk_f32 v18, v16, 0x3f62ad3f, v17
	v_add_f32_e32 v14, v14, v19
	v_fma_f32 v17, v16, s2, -v17
	v_mul_f32_e32 v19, 0xbf29c268, v3
	v_add_f32_e32 v93, v93, v97
	v_add_f32_e32 v90, v90, v94
	;; [unrolled: 1-line block ×3, first 2 shown]
	v_mul_f32_e32 v17, 0xbf29c268, v6
	v_fmamk_f32 v20, v16, 0xbf3f9e67, v19
	v_fma_f32 v19, v16, s13, -v19
	v_add_f32_e32 v89, v89, v93
	v_add_f32_e32 v93, v18, v25
	v_fma_f32 v18, v13, s13, -v17
	v_fmac_f32_e32 v17, 0xbf3f9e67, v13
	v_add_f32_e32 v36, v19, v36
	v_mul_f32_e32 v19, 0x3f52af12, v6
	v_mul_f32_e32 v23, 0xbf6f5d39, v3
	v_add_f32_e32 v18, v18, v35
	v_add_f32_e32 v35, v20, v51
	;; [unrolled: 1-line block ×3, first 2 shown]
	v_fma_f32 v20, v13, s3, -v19
	v_mul_f32_e32 v21, 0x3f52af12, v3
	v_fmamk_f32 v24, v16, 0xbeb58ec6, v23
	v_mul_f32_e32 v3, 0x3f7e222b, v3
	v_add_f32_e32 v20, v20, v52
	v_add_f32_e32 v52, v24, v88
	v_fmamk_f32 v24, v16, 0x3df6dbef, v3
	v_fma_f32 v3, v16, s6, -v3
	v_add_f32_e32 v3, v3, v11
	v_lshrrev_b32_e32 v11, 1, v76
	v_mul_u32_u24_e32 v11, 26, v11
	v_add_f32_e32 v15, v15, v22
	v_fmamk_f32 v22, v16, 0x3f116cb1, v21
	v_or_b32_e32 v11, v11, v4
	v_add_f32_e32 v51, v22, v85
	v_lshl_add_u32 v85, v11, 2, 0
	v_fmac_f32_e32 v19, 0x3f116cb1, v13
	v_fma_f32 v21, v16, s3, -v21
	ds_write2_b32 v85, v2, v61 offset1:2
	ds_write2_b32 v85, v83, v65 offset0:4 offset1:6
	ds_write2_b32 v85, v71, v73 offset0:8 offset1:10
	;; [unrolled: 1-line block ×5, first 2 shown]
	ds_write_b32 v85, v62 offset:96
	v_lshrrev_b32_e32 v2, 1, v74
	v_add_f32_e32 v19, v19, v38
	v_add_f32_e32 v38, v21, v63
	v_mul_f32_e32 v21, 0xbf6f5d39, v6
	v_fma_f32 v23, v16, s11, -v23
	v_mul_f32_e32 v6, 0x3f7e222b, v6
	v_mul_lo_u32 v2, v2, 26
	v_fma_f32 v22, v13, s11, -v21
	v_fmac_f32_e32 v21, 0xbeb58ec6, v13
	v_add_f32_e32 v63, v23, v87
	v_fma_f32 v23, v13, s6, -v6
	v_fmac_f32_e32 v6, 0x3df6dbef, v13
	v_or_b32_e32 v2, v2, v4
	v_add_f32_e32 v22, v22, v86
	v_add_f32_e32 v21, v21, v68
	;; [unrolled: 1-line block ×4, first 2 shown]
	v_lshl_add_u32 v2, v2, 2, 0
	v_subrev_u32_e32 v78, 26, v76
	v_add_f32_e32 v68, v24, v90
	ds_write2_b32 v2, v82, v10 offset1:2
	ds_write2_b32 v2, v15, v18 offset0:4 offset1:6
	ds_write2_b32 v2, v20, v22 offset0:8 offset1:10
	;; [unrolled: 1-line block ×5, first 2 shown]
	ds_write_b32 v2, v7 offset:96
	s_waitcnt lgkmcnt(0)
	; wave barrier
	s_waitcnt lgkmcnt(0)
	ds_read2_b32 v[6:7], v5 offset1:156
	ds_read2_b32 v[20:21], v49 offset0:164 offset1:216
	ds_read2_b32 v[18:19], v44 offset0:12 offset1:64
	ds_read2_b32 v[16:17], v44 offset0:116 offset1:168
	ds_read2_b32 v[14:15], v26 offset0:92 offset1:144
	ds_read2_b32 v[12:13], v50 offset0:68 offset1:120
	ds_read2_b32 v[10:11], v50 offset0:172 offset1:224
	ds_read_b32 v65, v29
	ds_read_b32 v69, v30
	;; [unrolled: 1-line block ×4, first 2 shown]
	ds_read_b32 v140, v5 offset:5200
	ds_read_b32 v86, v48
	ds_read_b32 v87, v32
	;; [unrolled: 1-line block ×3, first 2 shown]
	ds_read2_b32 v[24:25], v27 offset0:4 offset1:108
	ds_read2_b32 v[22:23], v28 offset0:84 offset1:188
	s_waitcnt lgkmcnt(0)
	; wave barrier
	s_waitcnt lgkmcnt(0)
	ds_write2_b32 v85, v1, v39 offset1:2
	ds_write2_b32 v85, v40, v53 offset0:4 offset1:6
	ds_write2_b32 v85, v57, v59 offset0:8 offset1:10
	;; [unrolled: 1-line block ×5, first 2 shown]
	ds_write_b32 v85, v0 offset:96
	ds_write2_b32 v2, v84, v91 offset1:2
	ds_write2_b32 v2, v93, v35 offset0:4 offset1:6
	ds_write2_b32 v2, v51, v52 offset0:8 offset1:10
	;; [unrolled: 1-line block ×5, first 2 shown]
	ds_write_b32 v2, v92 offset:96
	v_cndmask_b32_e64 v35, v78, v76, s[0:1]
	v_mul_i32_i24_e32 v0, 12, v35
	v_mov_b32_e32 v1, 0
	v_lshl_add_u64 v[0:1], v[0:1], 3, s[4:5]
	s_waitcnt lgkmcnt(0)
	; wave barrier
	s_waitcnt lgkmcnt(0)
	global_load_dwordx4 v[56:59], v[0:1], off offset:192
	global_load_dwordx4 v[60:63], v[0:1], off offset:208
	;; [unrolled: 1-line block ×6, first 2 shown]
	v_mul_lo_u16_sdwa v0, v74, s10 dst_sel:DWORD dst_unused:UNUSED_PAD src0_sel:BYTE_0 src1_sel:DWORD
	v_lshrrev_b16_e32 v36, 11, v0
	v_mul_lo_u16_e32 v0, 26, v36
	v_sub_u16_e32 v38, v74, v0
	v_mov_b32_e32 v0, 12
	v_mul_u32_u24_sdwa v0, v38, v0 dst_sel:DWORD dst_unused:UNUSED_PAD src0_sel:BYTE_0 src1_sel:DWORD
	v_lshlrev_b32_e32 v1, 3, v0
	global_load_dwordx4 v[110:113], v1, s[4:5] offset:192
	global_load_dwordx4 v[114:117], v1, s[4:5] offset:208
	ds_read2_b32 v[2:3], v5 offset1:156
	global_load_dwordx4 v[118:121], v1, s[4:5] offset:240
	global_load_dwordx4 v[122:125], v1, s[4:5] offset:224
	ds_read_b32 v39, v29
	ds_read_b32 v51, v30
	;; [unrolled: 1-line block ×4, first 2 shown]
	ds_read2_b32 v[30:31], v49 offset0:164 offset1:216
	ds_read2_b32 v[40:41], v44 offset0:12 offset1:64
	ds_read_b32 v29, v48
	ds_read_b32 v52, v32
	ds_read2_b32 v[82:83], v44 offset0:116 offset1:168
	ds_read2_b32 v[134:135], v26 offset0:92 offset1:144
	;; [unrolled: 1-line block ×3, first 2 shown]
	ds_read_b32 v0, v45
	global_load_dwordx4 v[126:129], v1, s[4:5] offset:272
	global_load_dwordx4 v[130:133], v1, s[4:5] offset:256
	s_mov_b32 s10, s3
	s_waitcnt vmcnt(11)
	v_mul_f32_e32 v97, v87, v57
	s_waitcnt vmcnt(10) lgkmcnt(11)
	v_mul_f32_e32 v1, v39, v61
	s_waitcnt lgkmcnt(4)
	v_mul_f32_e32 v53, v52, v57
	v_fmac_f32_e32 v97, v52, v56
	v_mul_f32_e32 v52, v29, v59
	v_fma_f32 v90, v65, v60, -v1
	v_mul_f32_e32 v1, v51, v63
	v_fma_f32 v92, v86, v58, -v52
	;; [unrolled: 2-line block ×3, first 2 shown]
	s_waitcnt vmcnt(9)
	v_mul_f32_e32 v1, v68, v71
	v_fma_f32 v80, v75, v70, -v1
	v_mul_f32_e32 v81, v75, v71
	v_mul_f32_e32 v1, v34, v73
	v_fmac_f32_e32 v81, v68, v70
	v_fma_f32 v70, v79, v72, -v1
	v_mul_f32_e32 v71, v79, v73
	s_waitcnt vmcnt(8)
	v_mul_f32_e32 v1, v31, v99
	v_fmac_f32_e32 v71, v34, v72
	v_fma_f32 v72, v21, v98, -v1
	v_mul_f32_e32 v1, v41, v101
	v_fma_f32 v94, v87, v56, -v53
	v_fmac_f32_e32 v95, v29, v58
	ds_read2_b32 v[138:139], v50 offset0:172 offset1:224
	ds_read2_b32 v[52:53], v27 offset0:4 offset1:108
	;; [unrolled: 1-line block ×3, first 2 shown]
	v_fma_f32 v84, v19, v100, -v1
	s_waitcnt vmcnt(7) lgkmcnt(6)
	v_mul_f32_e32 v1, v83, v103
	v_fma_f32 v88, v17, v102, -v1
	s_waitcnt lgkmcnt(5)
	v_mul_f32_e32 v1, v135, v105
	v_mul_f32_e32 v91, v65, v61
	;; [unrolled: 1-line block ×3, first 2 shown]
	v_fma_f32 v93, v15, v104, -v1
	s_waitcnt vmcnt(6) lgkmcnt(4)
	v_mul_f32_e32 v1, v137, v107
	v_fmac_f32_e32 v91, v39, v60
	ds_read_b32 v39, v5 offset:5200
	v_fmac_f32_e32 v75, v31, v98
	v_mul_f32_e32 v85, v19, v101
	v_fma_f32 v98, v13, v106, -v1
	s_waitcnt lgkmcnt(3)
	v_mul_f32_e32 v1, v139, v109
	v_mul_f32_e32 v87, v69, v63
	v_fmac_f32_e32 v85, v41, v100
	v_fma_f32 v100, v11, v108, -v1
	v_mul_f32_e32 v101, v11, v109
	s_waitcnt vmcnt(3)
	v_mul_f32_e32 v11, v82, v121
	v_fmac_f32_e32 v87, v51, v62
	v_fma_f32 v51, v16, v120, -v11
	s_waitcnt vmcnt(0)
	v_mul_f32_e32 v11, v134, v131
	v_fma_f32 v59, v14, v130, -v11
	v_mul_f32_e32 v11, v136, v133
	v_mul_f32_e32 v1, v3, v111
	;; [unrolled: 1-line block ×3, first 2 shown]
	v_fma_f32 v63, v12, v132, -v11
	v_mul_f32_e32 v11, v138, v127
	v_fma_f32 v68, v7, v110, -v1
	s_waitcnt lgkmcnt(2)
	v_mul_f32_e32 v1, v52, v113
	v_fmac_f32_e32 v62, v52, v112
	v_mul_f32_e32 v52, v16, v121
	v_fma_f32 v73, v10, v126, -v11
	v_mul_f32_e32 v79, v10, v127
	s_waitcnt lgkmcnt(0)
	v_mul_f32_e32 v10, v39, v129
	v_fmac_f32_e32 v52, v82, v120
	v_fma_f32 v82, v140, v128, -v10
	v_add_f32_e32 v10, v6, v94
	v_add_f32_e32 v10, v10, v92
	;; [unrolled: 1-line block ×8, first 2 shown]
	v_fma_f32 v61, v24, v112, -v1
	v_mul_f32_e32 v1, v53, v115
	v_add_f32_e32 v10, v10, v88
	v_fmac_f32_e32 v101, v139, v108
	v_fma_f32 v57, v25, v114, -v1
	v_mul_f32_e32 v58, v25, v115
	v_mul_f32_e32 v1, v28, v117
	v_add_f32_e32 v10, v10, v93
	v_fmac_f32_e32 v58, v53, v114
	v_fma_f32 v53, v22, v116, -v1
	v_mul_f32_e32 v1, v29, v123
	v_add_f32_e32 v10, v10, v98
	v_sub_f32_e32 v11, v97, v101
	v_mul_f32_e32 v89, v17, v103
	v_mul_f32_e32 v99, v13, v107
	;; [unrolled: 1-line block ×4, first 2 shown]
	v_fma_f32 v25, v23, v122, -v1
	v_mul_f32_e32 v1, v30, v125
	v_mul_f32_e32 v7, v40, v119
	;; [unrolled: 1-line block ×4, first 2 shown]
	v_add_f32_e32 v21, v10, v100
	v_add_f32_e32 v10, v94, v100
	v_mul_f32_e32 v12, 0xbeedf032, v11
	v_mul_f32_e32 v14, 0xbf52af12, v11
	;; [unrolled: 1-line block ×7, first 2 shown]
	v_fmac_f32_e32 v99, v137, v106
	v_fmac_f32_e32 v69, v3, v110
	;; [unrolled: 1-line block ×3, first 2 shown]
	v_fma_f32 v1, v20, v124, -v1
	v_mul_f32_e32 v3, v20, v125
	v_fma_f32 v7, v18, v118, -v7
	v_mul_f32_e32 v15, v18, v119
	v_fma_f32 v13, v10, s2, -v12
	v_fmac_f32_e32 v12, 0x3f62ad3f, v10
	v_fma_f32 v16, v10, s3, -v14
	v_fmac_f32_e32 v14, 0x3f116cb1, v10
	;; [unrolled: 2-line block ×6, first 2 shown]
	v_mul_f32_e32 v23, v23, v123
	v_add_f32_e32 v13, v6, v13
	v_add_f32_e32 v12, v6, v12
	;; [unrolled: 1-line block ×12, first 2 shown]
	v_sub_f32_e32 v11, v95, v99
	v_fmac_f32_e32 v23, v29, v122
	v_add_f32_e32 v10, v92, v98
	v_mul_f32_e32 v29, 0xbf52af12, v11
	v_fmac_f32_e32 v3, v30, v124
	v_fma_f32 v30, v10, s3, -v29
	v_fmac_f32_e32 v29, 0x3f116cb1, v10
	v_add_f32_e32 v12, v29, v12
	v_mul_f32_e32 v29, 0xbf6f5d39, v11
	v_add_f32_e32 v13, v30, v13
	v_fma_f32 v30, v10, s11, -v29
	v_fmac_f32_e32 v29, 0xbeb58ec6, v10
	v_add_f32_e32 v14, v29, v14
	v_mul_f32_e32 v29, 0xbe750f2a, v11
	v_add_f32_e32 v16, v30, v16
	;; [unrolled: 5-line block ×4, first 2 shown]
	v_fma_f32 v30, v10, s6, -v29
	v_fmac_f32_e32 v29, 0x3df6dbef, v10
	v_mul_f32_e32 v11, 0x3eedf032, v11
	v_fmac_f32_e32 v96, v135, v104
	v_add_f32_e32 v22, v29, v22
	v_fma_f32 v29, v10, s2, -v11
	v_fmac_f32_e32 v11, 0x3f62ad3f, v10
	v_add_f32_e32 v6, v11, v6
	v_sub_f32_e32 v11, v91, v96
	v_add_f32_e32 v28, v29, v28
	v_add_f32_e32 v10, v90, v93
	v_mul_f32_e32 v29, 0xbf7e222b, v11
	v_add_f32_e32 v24, v30, v24
	v_fma_f32 v30, v10, s6, -v29
	v_fmac_f32_e32 v29, 0x3df6dbef, v10
	v_add_f32_e32 v12, v29, v12
	v_mul_f32_e32 v29, 0xbe750f2a, v11
	v_add_f32_e32 v13, v30, v13
	v_fma_f32 v30, v10, s7, -v29
	v_fmac_f32_e32 v29, 0xbf788fa5, v10
	;; [unrolled: 5-line block ×5, first 2 shown]
	v_mul_f32_e32 v11, 0xbf29c268, v11
	v_fmac_f32_e32 v89, v83, v102
	v_add_f32_e32 v22, v29, v22
	v_fma_f32 v29, v10, s13, -v11
	v_fmac_f32_e32 v11, 0xbf3f9e67, v10
	v_add_f32_e32 v6, v11, v6
	v_sub_f32_e32 v11, v87, v89
	v_add_f32_e32 v28, v29, v28
	v_add_f32_e32 v10, v86, v88
	v_mul_f32_e32 v29, 0xbf6f5d39, v11
	v_add_f32_e32 v24, v30, v24
	v_fma_f32 v30, v10, s11, -v29
	v_fmac_f32_e32 v29, 0xbeb58ec6, v10
	v_add_f32_e32 v12, v29, v12
	v_mul_f32_e32 v29, 0x3f29c268, v11
	v_add_f32_e32 v13, v30, v13
	v_fma_f32 v30, v10, s13, -v29
	v_fmac_f32_e32 v29, 0xbf3f9e67, v10
	;; [unrolled: 5-line block ×5, first 2 shown]
	v_mul_f32_e32 v11, 0x3f52af12, v11
	v_add_f32_e32 v22, v29, v22
	v_fma_f32 v29, v10, s3, -v11
	v_fmac_f32_e32 v11, 0x3f116cb1, v10
	v_add_f32_e32 v6, v11, v6
	v_sub_f32_e32 v11, v81, v85
	v_add_f32_e32 v28, v29, v28
	v_add_f32_e32 v10, v80, v84
	v_mul_f32_e32 v29, 0xbf29c268, v11
	v_add_f32_e32 v24, v30, v24
	v_fma_f32 v30, v10, s13, -v29
	v_fmac_f32_e32 v29, 0xbf3f9e67, v10
	v_add_f32_e32 v12, v29, v12
	v_mul_f32_e32 v29, 0x3f7e222b, v11
	v_add_f32_e32 v13, v30, v13
	v_fma_f32 v30, v10, s6, -v29
	v_fmac_f32_e32 v29, 0x3df6dbef, v10
	;; [unrolled: 5-line block ×5, first 2 shown]
	v_mul_f32_e32 v11, 0xbf6f5d39, v11
	v_add_f32_e32 v22, v29, v22
	v_fma_f32 v29, v10, s11, -v11
	v_fmac_f32_e32 v11, 0xbeb58ec6, v10
	v_add_f32_e32 v6, v11, v6
	v_sub_f32_e32 v11, v71, v75
	v_add_f32_e32 v28, v29, v28
	v_add_f32_e32 v10, v70, v72
	v_mul_f32_e32 v29, 0xbe750f2a, v11
	v_add_f32_e32 v24, v30, v24
	v_fma_f32 v30, v10, s7, -v29
	v_fmac_f32_e32 v29, 0xbf788fa5, v10
	v_add_f32_e32 v29, v29, v12
	v_mul_f32_e32 v12, 0x3eedf032, v11
	v_add_f32_e32 v34, v30, v13
	v_fma_f32 v13, v10, s2, -v12
	v_fmac_f32_e32 v12, 0x3f62ad3f, v10
	v_mul_f32_e32 v83, v140, v129
	v_add_f32_e32 v102, v12, v14
	v_mul_f32_e32 v12, 0xbf29c268, v11
	v_fmac_f32_e32 v83, v39, v128
	v_add_f32_e32 v39, v13, v16
	v_fma_f32 v13, v10, s13, -v12
	v_fmac_f32_e32 v12, 0xbf3f9e67, v10
	v_add_f32_e32 v104, v12, v17
	v_mul_f32_e32 v12, 0x3f52af12, v11
	v_add_f32_e32 v103, v13, v18
	v_fma_f32 v13, v10, s3, -v12
	v_fmac_f32_e32 v12, 0x3f116cb1, v10
	v_add_f32_e32 v106, v12, v19
	v_mul_f32_e32 v12, 0xbf6f5d39, v11
	v_add_f32_e32 v105, v13, v20
	v_fma_f32 v13, v10, s11, -v12
	v_fmac_f32_e32 v12, 0xbeb58ec6, v10
	v_mul_f32_e32 v11, 0x3f7e222b, v11
	v_add_f32_e32 v108, v12, v22
	v_fma_f32 v12, v10, s6, -v11
	v_fmac_f32_e32 v11, 0x3df6dbef, v10
	v_sub_f32_e32 v10, v69, v83
	v_add_f32_e32 v110, v11, v6
	v_add_f32_e32 v6, v68, v82
	v_mul_f32_e32 v11, 0xbf7e222b, v10
	v_add_f32_e32 v109, v12, v28
	v_fma_f32 v12, v6, s6, -v11
	v_add_f32_e32 v107, v13, v24
	v_add_f32_e32 v13, v4, v12
	v_mul_f32_e32 v12, 0xbf6f5d39, v10
	v_fma_f32 v14, v6, s11, -v12
	v_fmac_f32_e32 v12, 0xbeb58ec6, v6
	v_add_f32_e32 v17, v4, v12
	v_mul_f32_e32 v12, 0xbf29c268, v10
	v_add_f32_e32 v16, v4, v14
	v_fma_f32 v14, v6, s13, -v12
	v_fmac_f32_e32 v12, 0xbf3f9e67, v6
	v_add_f32_e32 v19, v4, v12
	v_mul_f32_e32 v12, 0xbe750f2a, v10
	v_fmac_f32_e32 v79, v138, v126
	v_add_f32_e32 v18, v4, v14
	v_fma_f32 v14, v6, s7, -v12
	v_add_f32_e32 v20, v4, v14
	v_fmac_f32_e32 v12, 0xbf788fa5, v6
	v_sub_f32_e32 v14, v62, v79
	v_fmac_f32_e32 v11, 0x3df6dbef, v6
	v_add_f32_e32 v22, v4, v12
	v_add_f32_e32 v12, v61, v73
	v_mul_f32_e32 v24, 0xbe750f2a, v14
	v_add_f32_e32 v11, v4, v11
	v_fma_f32 v28, v12, s7, -v24
	v_fmac_f32_e32 v24, 0xbf788fa5, v12
	v_add_f32_e32 v11, v24, v11
	v_mul_f32_e32 v24, 0x3f29c268, v14
	v_add_f32_e32 v13, v28, v13
	v_fma_f32 v28, v12, s13, -v24
	v_add_f32_e32 v28, v28, v16
	v_fmac_f32_e32 v24, 0xbf3f9e67, v12
	v_mul_f32_e32 v16, 0x3f7e222b, v14
	v_add_f32_e32 v17, v24, v17
	v_fma_f32 v24, v12, s6, -v16
	v_fmac_f32_e32 v16, 0x3df6dbef, v12
	v_add_f32_e32 v19, v16, v19
	v_mul_f32_e32 v16, 0x3eedf032, v14
	v_fmac_f32_e32 v65, v136, v132
	v_add_f32_e32 v24, v24, v18
	v_fma_f32 v18, v12, s2, -v16
	v_add_f32_e32 v20, v18, v20
	v_fmac_f32_e32 v16, 0x3f62ad3f, v12
	v_sub_f32_e32 v18, v58, v65
	v_add_f32_e32 v22, v16, v22
	v_add_f32_e32 v16, v57, v63
	v_mul_f32_e32 v30, 0x3f6f5d39, v18
	v_fma_f32 v31, v16, s11, -v30
	v_fmac_f32_e32 v30, 0xbeb58ec6, v16
	v_add_f32_e32 v11, v30, v11
	v_mul_f32_e32 v30, 0x3eedf032, v18
	v_add_f32_e32 v13, v31, v13
	v_fma_f32 v31, v16, s2, -v30
	v_fmac_f32_e32 v30, 0x3f62ad3f, v16
	v_add_f32_e32 v17, v30, v17
	v_mul_f32_e32 v30, 0xbf52af12, v18
	v_add_f32_e32 v28, v31, v28
	v_fma_f32 v31, v16, s3, -v30
	v_fmac_f32_e32 v30, 0x3f116cb1, v16
	v_add_f32_e32 v19, v30, v19
	v_mul_f32_e32 v30, 0xbf29c268, v18
	v_fmac_f32_e32 v60, v134, v130
	v_add_f32_e32 v24, v31, v24
	v_fma_f32 v31, v16, s13, -v30
	v_fmac_f32_e32 v30, 0xbf3f9e67, v16
	v_add_f32_e32 v30, v30, v22
	v_sub_f32_e32 v22, v56, v60
	v_fmac_f32_e32 v15, v40, v118
	v_add_f32_e32 v31, v31, v20
	v_add_f32_e32 v20, v53, v59
	v_mul_f32_e32 v40, 0x3eedf032, v22
	v_fma_f32 v41, v20, s2, -v40
	v_fmac_f32_e32 v40, 0x3f62ad3f, v20
	v_add_f32_e32 v11, v40, v11
	v_mul_f32_e32 v40, 0xbf7e222b, v22
	v_add_f32_e32 v13, v41, v13
	v_fma_f32 v41, v20, s6, -v40
	v_add_f32_e32 v41, v41, v28
	v_fmac_f32_e32 v40, 0x3df6dbef, v20
	v_mul_f32_e32 v28, 0x3e750f2a, v22
	v_add_f32_e32 v17, v40, v17
	v_fma_f32 v40, v20, s7, -v28
	v_add_f32_e32 v40, v40, v24
	v_fmac_f32_e32 v28, 0xbf788fa5, v20
	v_mul_f32_e32 v24, 0x3f52af12, v22
	v_add_f32_e32 v19, v28, v19
	v_fma_f32 v28, v20, s3, -v24
	v_add_f32_e32 v31, v28, v31
	v_fmac_f32_e32 v24, 0x3f116cb1, v20
	v_sub_f32_e32 v28, v23, v52
	v_add_f32_e32 v30, v24, v30
	v_add_f32_e32 v24, v25, v51
	v_mul_f32_e32 v111, 0xbf52af12, v28
	v_fma_f32 v112, v24, s3, -v111
	v_fmac_f32_e32 v111, 0x3f116cb1, v24
	v_add_f32_e32 v111, v111, v11
	v_mul_f32_e32 v11, 0x3e750f2a, v28
	v_add_f32_e32 v112, v112, v13
	v_fma_f32 v13, v24, s7, -v11
	v_fmac_f32_e32 v11, 0xbf788fa5, v24
	v_add_f32_e32 v114, v11, v17
	v_mul_f32_e32 v11, 0x3eedf032, v28
	v_add_f32_e32 v113, v13, v41
	v_fma_f32 v13, v24, s2, -v11
	v_fmac_f32_e32 v11, 0x3f62ad3f, v24
	v_add_f32_e32 v116, v11, v19
	v_add_f32_e32 v19, v4, v68
	;; [unrolled: 1-line block ×5, first 2 shown]
	v_mul_f32_e32 v11, 0xbf6f5d39, v28
	v_add_f32_e32 v19, v19, v25
	v_add_f32_e32 v115, v13, v40
	v_fma_f32 v13, v24, s11, -v11
	v_fmac_f32_e32 v11, 0xbeb58ec6, v24
	v_add_f32_e32 v19, v19, v1
	v_add_f32_e32 v118, v11, v30
	v_pk_mul_f32 v[10:11], v[10:11], s[24:25] op_sel_hi:[0,1]
	v_add_f32_e32 v19, v19, v7
	v_add_f32_e32 v117, v13, v31
	v_pk_fma_f32 v[30:31], v[6:7], s[2:3], v[10:11] op_sel_hi:[0,1,1] neg_lo:[0,0,1] neg_hi:[0,0,1]
	v_add_f32_e32 v19, v19, v51
	v_add_f32_e32 v13, v4, v30
	;; [unrolled: 1-line block ×4, first 2 shown]
	v_pk_mul_f32 v[30:31], v[14:15], s[20:21] op_sel_hi:[0,1]
	v_add_f32_e32 v19, v19, v63
	v_pk_fma_f32 v[10:11], v[6:7], s[2:3], v[10:11] op_sel_hi:[0,1,1]
	v_pk_fma_f32 v[40:41], v[12:13], s[10:11], v[30:31] op_sel_hi:[0,1,1] neg_lo:[0,0,1] neg_hi:[0,0,1]
	v_add_f32_e32 v19, v19, v73
	v_pk_add_f32 v[10:11], v[4:5], v[10:11] op_sel_hi:[0,1]
	v_add_f32_e32 v14, v40, v13
	v_pk_fma_f32 v[12:13], v[12:13], s[10:11], v[30:31] op_sel_hi:[0,1,1]
	v_add_f32_e32 v17, v41, v17
	v_pk_add_f32 v[10:11], v[12:13], v[10:11]
	v_pk_mul_f32 v[12:13], v[18:19], s[14:15] op_sel_hi:[0,1]
	v_add_f32_e32 v119, v19, v82
	v_pk_fma_f32 v[18:19], v[16:17], s[6:7], v[12:13] op_sel_hi:[0,1,1] neg_lo:[0,0,1] neg_hi:[0,0,1]
	v_pk_fma_f32 v[12:13], v[16:17], s[6:7], v[12:13] op_sel_hi:[0,1,1]
	v_pk_add_f32 v[10:11], v[12:13], v[10:11]
	v_pk_mul_f32 v[12:13], v[22:23], s[22:23] op_sel_hi:[0,1]
	v_add_f32_e32 v14, v18, v14
	v_add_f32_e32 v18, v19, v17
	v_pk_fma_f32 v[16:17], v[20:21], s[12:13], v[12:13] op_sel_hi:[0,1,1] neg_lo:[0,0,1] neg_hi:[0,0,1]
	v_pk_fma_f32 v[12:13], v[20:21], s[12:13], v[12:13] op_sel_hi:[0,1,1]
	v_pk_add_f32 v[10:11], v[12:13], v[10:11]
	s_mov_b32 s20, s13
	s_mov_b32 s21, s6
	v_pk_mul_f32 v[12:13], v[28:29], s[18:19] op_sel_hi:[0,1]
	v_sub_f32_e32 v4, v3, v15
	v_add_f32_e32 v14, v16, v14
	v_add_f32_e32 v18, v17, v18
	v_pk_fma_f32 v[16:17], v[24:25], s[20:21], v[12:13] op_sel_hi:[0,1,1] neg_lo:[0,0,1] neg_hi:[0,0,1]
	v_pk_fma_f32 v[12:13], v[24:25], s[20:21], v[12:13] op_sel_hi:[0,1,1]
	v_add_f32_e32 v6, v1, v7
	v_pk_add_f32 v[10:11], v[12:13], v[10:11]
	s_mov_b32 s18, s7
	s_mov_b32 s19, s2
	v_pk_mul_f32 v[12:13], v[4:5], s[16:17] op_sel_hi:[0,1]
	v_add_f32_e32 v14, v16, v14
	v_add_f32_e32 v18, v17, v18
	v_pk_fma_f32 v[16:17], v[6:7], s[18:19], v[12:13] op_sel_hi:[0,1,1] neg_lo:[0,0,1] neg_hi:[0,0,1]
	v_pk_fma_f32 v[12:13], v[6:7], s[18:19], v[12:13] op_sel_hi:[0,1,1]
	v_add_f32_e32 v14, v16, v14
	v_add_f32_e32 v16, v17, v18
	v_pk_add_f32 v[10:11], v[12:13], v[10:11]
	v_mul_f32_e32 v12, 0xbf29c268, v4
	v_mul_f32_e32 v17, 0x3f52af12, v4
	;; [unrolled: 1-line block ×4, first 2 shown]
	v_fma_f32 v22, v6, s6, -v4
	v_fmac_f32_e32 v4, 0x3df6dbef, v6
	v_fma_f32 v13, v6, s13, -v12
	v_fmac_f32_e32 v12, 0xbf3f9e67, v6
	;; [unrolled: 2-line block ×4, first 2 shown]
	v_add_f32_e32 v6, v4, v118
	v_mov_b32_e32 v4, 0x548
	v_cmp_lt_u32_e64 s[2:3], 25, v76
	v_lshlrev_b32_e32 v24, 2, v35
	s_nop 0
	v_cndmask_b32_e64 v4, 0, v4, s[2:3]
	v_add3_u32 v4, 0, v4, v24
	; wave barrier
	ds_write2_b32 v4, v21, v34 offset1:26
	ds_write2_b32 v4, v39, v103 offset0:52 offset1:78
	ds_write2_b32 v4, v105, v107 offset0:104 offset1:130
	;; [unrolled: 1-line block ×4, first 2 shown]
	v_add_u32_e32 v21, 0x400, v4
	v_mov_b32_e32 v24, 2
	ds_write2_b32 v21, v104, v102 offset0:4 offset1:30
	ds_write_b32 v4, v29 offset:1248
	v_mul_u32_u24_e32 v21, 0x548, v36
	v_lshlrev_b32_sdwa v24, v24, v38 dst_sel:DWORD dst_unused:UNUSED_PAD src0_sel:DWORD src1_sel:BYTE_0
	v_add3_u32 v102, 0, v21, v24
	v_add_f32_e32 v13, v13, v112
	v_add_f32_e32 v12, v12, v111
	;; [unrolled: 1-line block ×7, first 2 shown]
	ds_write2_b32 v102, v119, v14 offset1:26
	ds_write2_b32 v102, v16, v13 offset0:52 offset1:78
	ds_write2_b32 v102, v18, v20 offset0:104 offset1:130
	;; [unrolled: 1-line block ×4, first 2 shown]
	v_add_u32_e32 v6, 0x400, v102
	ds_write2_b32 v6, v12, v11 offset0:4 offset1:30
	ds_write_b32 v102, v10 offset:1248
	s_waitcnt lgkmcnt(0)
	; wave barrier
	s_waitcnt lgkmcnt(0)
	ds_read2_b32 v[34:35], v27 offset0:82 offset1:134
	ds_read2_b32 v[38:39], v49 offset0:164 offset1:216
	;; [unrolled: 1-line block ×6, first 2 shown]
	v_lshl_add_u32 v103, v67, 2, 0
	ds_read_b32 v36, v45
	ds_read_b32 v24, v103
	ds_read2_b32 v[16:17], v49 offset0:34 offset1:86
	ds_read2_b32 v[20:21], v44 offset0:116 offset1:168
	;; [unrolled: 1-line block ×3, first 2 shown]
	v_lshl_add_u32 v104, v54, 2, 0
	ds_read_b32 v44, v5
	ds_read_b32 v22, v48
	;; [unrolled: 1-line block ×4, first 2 shown]
	v_sub_u32_e32 v6, 0, v47
	s_and_saveexec_b64 s[6:7], s[2:3]
	s_xor_b64 s[6:7], exec, s[6:7]
	s_or_saveexec_b64 s[6:7], s[6:7]
	v_sub_u32_e32 v47, 0, v43
	v_sub_u32_e32 v46, 0, v46
	v_add_u32_e32 v6, v42, v6
                                        ; implicit-def: $vgpr12
	s_xor_b64 exec, exec, s[6:7]
	s_cbranch_execz .LBB0_15
; %bb.14:
	ds_read_b32 v11, v6
	ds_read_b32 v10, v5 offset:2600
	ds_read_b32 v12, v5 offset:3952
	;; [unrolled: 1-line block ×3, first 2 shown]
.LBB0_15:
	s_or_b64 exec, exec, s[6:7]
	v_add_f32_e32 v42, v2, v97
	v_add_f32_e32 v42, v42, v95
	;; [unrolled: 1-line block ×11, first 2 shown]
	v_sub_f32_e32 v43, v94, v100
	s_mov_b32 s6, 0x3f62ad3f
	s_mov_b32 s10, 0x3df6dbef
	v_add_f32_e32 v49, v42, v101
	v_add_f32_e32 v42, v97, v101
	v_mul_f32_e32 v48, 0xbeedf032, v43
	s_mov_b32 s7, 0x3f116cb1
	v_mul_f32_e32 v94, 0xbf52af12, v43
	v_mul_f32_e32 v100, 0xbf7e222b, v43
	s_mov_b32 s11, 0xbf788fa5
	v_mul_f32_e32 v105, 0xbf6f5d39, v43
	s_mov_b32 s13, 0xbeb58ec6
	;; [unrolled: 2-line block ×3, first 2 shown]
	v_mul_f32_e32 v43, 0xbe750f2a, v43
	v_fmamk_f32 v50, v42, 0x3f62ad3f, v48
	v_fma_f32 v48, v42, s6, -v48
	v_fmamk_f32 v97, v42, 0x3f116cb1, v94
	v_fma_f32 v94, v42, s7, -v94
	;; [unrolled: 2-line block ×6, first 2 shown]
	v_sub_f32_e32 v43, v92, v98
	v_add_f32_e32 v50, v2, v50
	v_add_f32_e32 v48, v2, v48
	;; [unrolled: 1-line block ×13, first 2 shown]
	v_mul_f32_e32 v92, 0xbf52af12, v43
	v_fmamk_f32 v95, v42, 0x3f116cb1, v92
	v_fma_f32 v92, v42, s7, -v92
	v_add_f32_e32 v48, v92, v48
	v_mul_f32_e32 v92, 0xbf6f5d39, v43
	v_add_f32_e32 v50, v95, v50
	v_fmamk_f32 v95, v42, 0xbeb58ec6, v92
	v_fma_f32 v92, v42, s13, -v92
	v_add_f32_e32 v92, v92, v94
	v_mul_f32_e32 v94, 0xbe750f2a, v43
	v_add_f32_e32 v95, v95, v97
	v_fmamk_f32 v97, v42, 0xbf788fa5, v94
	v_fma_f32 v94, v42, s11, -v94
	v_mul_f32_e32 v98, 0x3f29c268, v43
	v_add_f32_e32 v94, v94, v100
	v_fmamk_f32 v99, v42, 0xbf3f9e67, v98
	v_fma_f32 v98, v42, s17, -v98
	v_mul_f32_e32 v100, 0x3f7e222b, v43
	v_mul_f32_e32 v43, 0x3eedf032, v43
	v_add_f32_e32 v97, v97, v101
	v_add_f32_e32 v98, v98, v105
	v_fmamk_f32 v101, v42, 0x3df6dbef, v100
	v_fma_f32 v100, v42, s10, -v100
	v_fmamk_f32 v105, v42, 0x3f62ad3f, v43
	v_fma_f32 v42, v42, s6, -v43
	v_sub_f32_e32 v43, v90, v93
	v_add_f32_e32 v2, v42, v2
	v_add_f32_e32 v42, v91, v96
	v_mul_f32_e32 v90, 0xbf7e222b, v43
	v_fmamk_f32 v91, v42, 0x3df6dbef, v90
	v_fma_f32 v90, v42, s10, -v90
	v_add_f32_e32 v48, v90, v48
	v_mul_f32_e32 v90, 0xbe750f2a, v43
	v_add_f32_e32 v50, v91, v50
	v_fmamk_f32 v91, v42, 0xbf788fa5, v90
	v_fma_f32 v90, v42, s11, -v90
	v_add_f32_e32 v90, v90, v92
	v_mul_f32_e32 v92, 0x3f6f5d39, v43
	v_fmamk_f32 v93, v42, 0xbeb58ec6, v92
	v_fma_f32 v92, v42, s13, -v92
	v_add_f32_e32 v92, v92, v94
	v_mul_f32_e32 v94, 0x3eedf032, v43
	v_add_f32_e32 v91, v91, v95
	v_fmamk_f32 v95, v42, 0x3f62ad3f, v94
	v_fma_f32 v94, v42, s6, -v94
	v_mul_f32_e32 v96, 0xbf52af12, v43
	v_mul_f32_e32 v43, 0xbf29c268, v43
	v_add_f32_e32 v93, v93, v97
	v_add_f32_e32 v94, v94, v98
	v_fmamk_f32 v97, v42, 0x3f116cb1, v96
	v_fma_f32 v96, v42, s7, -v96
	v_fmamk_f32 v98, v42, 0xbf3f9e67, v43
	v_fma_f32 v42, v42, s17, -v43
	v_sub_f32_e32 v43, v86, v88
	v_add_f32_e32 v2, v42, v2
	v_add_f32_e32 v42, v87, v89
	v_mul_f32_e32 v86, 0xbf6f5d39, v43
	v_fmamk_f32 v87, v42, 0xbeb58ec6, v86
	v_fma_f32 v86, v42, s13, -v86
	v_add_f32_e32 v48, v86, v48
	v_mul_f32_e32 v86, 0x3f29c268, v43
	v_add_f32_e32 v50, v87, v50
	v_fmamk_f32 v87, v42, 0xbf3f9e67, v86
	v_fma_f32 v86, v42, s17, -v86
	v_mul_f32_e32 v88, 0x3eedf032, v43
	v_add_f32_e32 v86, v86, v90
	v_fmamk_f32 v89, v42, 0x3f62ad3f, v88
	v_fma_f32 v88, v42, s6, -v88
	v_mul_f32_e32 v90, 0xbf7e222b, v43
	v_add_f32_e32 v87, v87, v91
	v_add_f32_e32 v88, v88, v92
	v_fmamk_f32 v91, v42, 0x3df6dbef, v90
	v_fma_f32 v90, v42, s10, -v90
	v_mul_f32_e32 v92, 0x3e750f2a, v43
	v_mul_f32_e32 v43, 0x3f52af12, v43
	v_add_f32_e32 v89, v89, v93
	v_add_f32_e32 v90, v90, v94
	v_fmamk_f32 v93, v42, 0xbf788fa5, v92
	v_fma_f32 v92, v42, s11, -v92
	v_fmamk_f32 v94, v42, 0x3f116cb1, v43
	v_fma_f32 v42, v42, s7, -v43
	v_sub_f32_e32 v43, v80, v84
	v_add_f32_e32 v2, v42, v2
	v_add_f32_e32 v42, v81, v85
	v_mul_f32_e32 v80, 0xbf29c268, v43
	v_fmamk_f32 v81, v42, 0xbf3f9e67, v80
	v_fma_f32 v80, v42, s17, -v80
	v_add_f32_e32 v48, v80, v48
	v_mul_f32_e32 v80, 0x3f7e222b, v43
	v_add_f32_e32 v50, v81, v50
	v_fmamk_f32 v81, v42, 0x3df6dbef, v80
	v_fma_f32 v80, v42, s10, -v80
	v_mul_f32_e32 v84, 0xbf52af12, v43
	v_add_f32_e32 v80, v80, v86
	v_fmamk_f32 v85, v42, 0x3f116cb1, v84
	v_fma_f32 v84, v42, s7, -v84
	v_mul_f32_e32 v86, 0x3e750f2a, v43
	v_add_f32_e32 v81, v81, v87
	v_add_f32_e32 v84, v84, v88
	v_fmamk_f32 v87, v42, 0xbf788fa5, v86
	v_fma_f32 v86, v42, s11, -v86
	v_mul_f32_e32 v88, 0x3eedf032, v43
	v_mul_f32_e32 v43, 0xbf6f5d39, v43
	v_add_f32_e32 v85, v85, v89
	v_add_f32_e32 v86, v86, v90
	v_fmamk_f32 v89, v42, 0x3f62ad3f, v88
	v_fma_f32 v88, v42, s6, -v88
	v_fmamk_f32 v90, v42, 0xbeb58ec6, v43
	v_fma_f32 v42, v42, s13, -v43
	v_sub_f32_e32 v43, v70, v72
	v_add_f32_e32 v2, v42, v2
	v_add_f32_e32 v42, v71, v75
	v_mul_f32_e32 v70, 0xbe750f2a, v43
	v_fmamk_f32 v71, v42, 0xbf788fa5, v70
	v_add_f32_e32 v100, v100, v107
	v_add_f32_e32 v71, v71, v50
	v_fma_f32 v50, v42, s11, -v70
	v_add_f32_e32 v99, v99, v106
	v_add_f32_e32 v96, v96, v100
	;; [unrolled: 1-line block ×3, first 2 shown]
	v_mul_f32_e32 v48, 0x3eedf032, v43
	v_add_f32_e32 v95, v95, v99
	v_add_f32_e32 v92, v92, v96
	v_fmamk_f32 v50, v42, 0x3f62ad3f, v48
	v_fma_f32 v48, v42, s6, -v48
	v_add_f32_e32 v91, v91, v95
	v_add_f32_e32 v88, v88, v92
	;; [unrolled: 1-line block ×3, first 2 shown]
	v_mul_f32_e32 v48, 0xbf29c268, v43
	v_add_f32_e32 v87, v87, v91
	v_add_f32_e32 v91, v50, v81
	v_fmamk_f32 v50, v42, 0xbf3f9e67, v48
	v_fma_f32 v48, v42, s17, -v48
	v_add_f32_e32 v84, v48, v84
	v_mul_f32_e32 v48, 0x3f52af12, v43
	v_add_f32_e32 v85, v50, v85
	v_fmamk_f32 v50, v42, 0x3f116cb1, v48
	v_fma_f32 v48, v42, s7, -v48
	v_add_f32_e32 v101, v101, v108
	v_add_f32_e32 v86, v48, v86
	v_mul_f32_e32 v48, 0xbf6f5d39, v43
	v_add_f32_e32 v97, v97, v101
	v_add_f32_e32 v87, v50, v87
	v_fmamk_f32 v50, v42, 0xbeb58ec6, v48
	v_fma_f32 v48, v42, s13, -v48
	v_mul_f32_e32 v43, 0x3f7e222b, v43
	v_add_f32_e32 v93, v93, v97
	v_add_f32_e32 v88, v48, v88
	v_fmamk_f32 v48, v42, 0x3df6dbef, v43
	v_fma_f32 v42, v42, s10, -v43
	v_add_f32_e32 v89, v89, v93
	v_add_f32_e32 v93, v42, v2
	v_add_f32_e32 v2, v0, v69
	v_add_f32_e32 v2, v2, v62
	v_add_f32_e32 v2, v2, v58
	v_add_f32_e32 v2, v2, v56
	v_add_f32_e32 v2, v2, v23
	v_add_f32_e32 v2, v2, v3
	v_add_f32_e32 v2, v2, v15
	v_add_f32_e32 v2, v2, v52
	v_add_f32_e32 v105, v105, v109
	v_add_f32_e32 v2, v2, v60
	v_add_f32_e32 v98, v98, v105
	v_add_f32_e32 v2, v2, v65
	v_add_f32_e32 v94, v94, v98
	v_add_f32_e32 v2, v2, v79
	v_sub_f32_e32 v42, v68, v82
	v_add_f32_e32 v90, v90, v94
	v_add_f32_e32 v94, v2, v83
	;; [unrolled: 1-line block ×3, first 2 shown]
	v_mul_f32_e32 v43, 0xbf7e222b, v42
	v_add_f32_e32 v90, v48, v90
	v_fmamk_f32 v48, v2, 0x3df6dbef, v43
	v_add_f32_e32 v68, v0, v48
	v_mul_f32_e32 v48, 0xbf6f5d39, v42
	v_add_f32_e32 v89, v50, v89
	v_fmamk_f32 v50, v2, 0xbeb58ec6, v48
	v_fma_f32 v48, v2, s13, -v48
	v_add_f32_e32 v70, v0, v48
	v_mul_f32_e32 v48, 0xbf29c268, v42
	v_add_f32_e32 v69, v0, v50
	v_fmamk_f32 v50, v2, 0xbf3f9e67, v48
	v_fma_f32 v48, v2, s17, -v48
	v_add_f32_e32 v80, v0, v48
	v_mul_f32_e32 v48, 0xbe750f2a, v42
	v_add_f32_e32 v72, v0, v50
	v_fmamk_f32 v50, v2, 0xbf788fa5, v48
	v_add_f32_e32 v81, v0, v50
	v_fma_f32 v48, v2, s11, -v48
	v_sub_f32_e32 v50, v61, v73
	v_fma_f32 v43, v2, s10, -v43
	v_add_f32_e32 v82, v0, v48
	v_add_f32_e32 v48, v62, v79
	v_mul_f32_e32 v61, 0xbe750f2a, v50
	v_add_f32_e32 v43, v0, v43
	v_fmamk_f32 v62, v48, 0xbf788fa5, v61
	v_fma_f32 v61, v48, s11, -v61
	v_add_f32_e32 v43, v61, v43
	v_mul_f32_e32 v61, 0x3f29c268, v50
	v_add_f32_e32 v68, v62, v68
	v_fmamk_f32 v62, v48, 0xbf3f9e67, v61
	v_add_f32_e32 v69, v62, v69
	v_fma_f32 v61, v48, s17, -v61
	v_mul_f32_e32 v62, 0x3f7e222b, v50
	v_add_f32_e32 v61, v61, v70
	v_fmamk_f32 v70, v48, 0x3df6dbef, v62
	v_fma_f32 v62, v48, s10, -v62
	v_add_f32_e32 v70, v70, v72
	v_add_f32_e32 v72, v62, v80
	v_mul_f32_e32 v62, 0x3eedf032, v50
	v_fmamk_f32 v73, v48, 0x3f62ad3f, v62
	v_fma_f32 v62, v48, s6, -v62
	v_add_f32_e32 v79, v62, v82
	v_sub_f32_e32 v62, v57, v63
	v_add_f32_e32 v58, v58, v65
	v_mul_f32_e32 v57, 0x3f6f5d39, v62
	v_add_f32_e32 v56, v56, v60
	v_sub_f32_e32 v60, v53, v59
	v_fmamk_f32 v63, v58, 0xbeb58ec6, v57
	v_fma_f32 v57, v58, s13, -v57
	v_mul_f32_e32 v53, 0x3eedf032, v60
	v_add_f32_e32 v43, v57, v43
	v_mul_f32_e32 v57, 0x3eedf032, v62
	v_fmamk_f32 v59, v56, 0x3f62ad3f, v53
	v_fma_f32 v53, v56, s6, -v53
	v_add_f32_e32 v63, v63, v68
	v_fmamk_f32 v65, v58, 0x3f62ad3f, v57
	v_fma_f32 v57, v58, s6, -v57
	v_add_f32_e32 v43, v53, v43
	v_mul_f32_e32 v53, 0xbf7e222b, v60
	v_add_f32_e32 v57, v57, v61
	v_mul_f32_e32 v61, 0xbf52af12, v62
	v_add_f32_e32 v59, v59, v63
	v_fmamk_f32 v63, v56, 0x3df6dbef, v53
	v_fma_f32 v53, v56, s10, -v53
	v_add_f32_e32 v65, v65, v69
	v_fmamk_f32 v68, v58, 0x3f116cb1, v61
	v_fma_f32 v61, v58, s7, -v61
	v_add_f32_e32 v53, v53, v57
	v_mul_f32_e32 v57, 0x3e750f2a, v60
	v_add_f32_e32 v61, v61, v72
	v_mul_f32_e32 v69, 0xbf29c268, v62
	v_add_f32_e32 v63, v63, v65
	v_fmamk_f32 v65, v56, 0xbf788fa5, v57
	v_fma_f32 v57, v56, s11, -v57
	v_add_f32_e32 v73, v73, v81
	v_add_f32_e32 v68, v68, v70
	v_fmamk_f32 v70, v58, 0xbf3f9e67, v69
	v_add_f32_e32 v57, v57, v61
	v_mul_f32_e32 v61, 0x3f52af12, v60
	v_add_f32_e32 v70, v70, v73
	v_add_f32_e32 v65, v65, v68
	v_fmamk_f32 v68, v56, 0x3f116cb1, v61
	v_add_f32_e32 v70, v68, v70
	v_sub_f32_e32 v68, v25, v51
	v_add_f32_e32 v52, v23, v52
	v_mul_f32_e32 v23, 0xbf52af12, v68
	v_fmamk_f32 v25, v52, 0x3f116cb1, v23
	v_fma_f32 v23, v52, s7, -v23
	v_add_f32_e32 v23, v23, v43
	v_mul_f32_e32 v43, 0x3e750f2a, v68
	v_fmamk_f32 v51, v52, 0xbf788fa5, v43
	v_fma_f32 v43, v52, s11, -v43
	v_add_f32_e32 v53, v43, v53
	v_mul_f32_e32 v43, 0x3eedf032, v68
	v_fma_f32 v69, v58, s17, -v69
	v_add_f32_e32 v25, v25, v59
	v_fmamk_f32 v59, v52, 0x3f62ad3f, v43
	v_fma_f32 v43, v52, s6, -v43
	s_mov_b32 s20, 0xbeedf032
	v_add_f32_e32 v69, v69, v79
	v_fma_f32 v61, v56, s7, -v61
	v_add_f32_e32 v57, v43, v57
	v_mul_f32_e32 v43, 0xbf6f5d39, v68
	s_mov_b32 s21, 0xbf52af12
	v_add_f32_e32 v61, v61, v69
	v_add_f32_e32 v51, v51, v63
	v_fmamk_f32 v63, v52, 0xbeb58ec6, v43
	v_fma_f32 v43, v52, s13, -v43
	v_add_f32_e32 v61, v43, v61
	v_pk_mul_f32 v[42:43], v[42:43], s[20:21] op_sel_hi:[0,1]
	s_mov_b32 s23, 0xbf6f5d39
	v_add_f32_e32 v63, v63, v70
	v_add_f32_e32 v70, v3, v15
	v_pk_fma_f32 v[80:81], v[2:3], s[6:7], v[42:43] op_sel_hi:[0,1,1]
	v_pk_fma_f32 v[2:3], v[2:3], s[6:7], v[42:43] op_sel_hi:[0,1,1] neg_lo:[0,0,1] neg_hi:[0,0,1]
	s_mov_b32 s22, s21
	v_sub_f32_e32 v72, v1, v7
	v_add_f32_e32 v7, v0, v80
	v_add_f32_e32 v15, v0, v81
	v_pk_add_f32 v[0:1], v[0:1], v[2:3] op_sel_hi:[0,1]
	s_mov_b32 s12, s7
	v_pk_mul_f32 v[2:3], v[50:51], s[22:23] op_sel_hi:[0,1]
	v_pk_fma_f32 v[42:43], v[48:49], s[12:13], v[2:3] op_sel_hi:[0,1,1]
	v_pk_fma_f32 v[2:3], v[48:49], s[12:13], v[2:3] op_sel_hi:[0,1,1] neg_lo:[0,0,1] neg_hi:[0,0,1]
	v_add_f32_e32 v59, v59, v65
	v_pk_add_f32 v[0:1], v[2:3], v[0:1]
	v_pk_mul_f32 v[2:3], v[62:63], s[14:15] op_sel_hi:[0,1]
	s_mov_b32 s27, 0x3f29c268
	v_add_f32_e32 v7, v42, v7
	v_add_f32_e32 v15, v43, v15
	v_pk_fma_f32 v[42:43], v[58:59], s[10:11], v[2:3] op_sel_hi:[0,1,1]
	v_pk_fma_f32 v[2:3], v[58:59], s[10:11], v[2:3] op_sel_hi:[0,1,1] neg_lo:[0,0,1] neg_hi:[0,0,1]
	s_mov_b32 s26, s23
	s_mov_b32 s18, 0xbf29c268
	v_pk_add_f32 v[0:1], v[2:3], v[0:1]
	s_mov_b32 s16, s13
	v_pk_mul_f32 v[2:3], v[60:61], s[26:27] op_sel_hi:[0,1]
	s_mov_b32 s19, 0x3f7e222b
	v_add_f32_e32 v7, v42, v7
	v_add_f32_e32 v15, v43, v15
	v_pk_fma_f32 v[42:43], v[56:57], s[16:17], v[2:3] op_sel_hi:[0,1,1]
	v_pk_fma_f32 v[2:3], v[56:57], s[16:17], v[2:3] op_sel_hi:[0,1,1] neg_lo:[0,0,1] neg_hi:[0,0,1]
	v_pk_add_f32 v[0:1], v[2:3], v[0:1]
	s_mov_b32 s20, s17
	s_mov_b32 s21, s10
	v_pk_mul_f32 v[2:3], v[68:69], s[18:19] op_sel_hi:[0,1]
	s_mov_b32 s25, 0x3eedf032
	v_add_f32_e32 v7, v42, v7
	v_add_f32_e32 v15, v43, v15
	v_pk_fma_f32 v[42:43], v[52:53], s[20:21], v[2:3] op_sel_hi:[0,1,1]
	v_pk_fma_f32 v[2:3], v[52:53], s[20:21], v[2:3] op_sel_hi:[0,1,1] neg_lo:[0,0,1] neg_hi:[0,0,1]
	s_mov_b32 s24, s15
	v_pk_add_f32 v[0:1], v[2:3], v[0:1]
	s_mov_b32 s18, s11
	s_mov_b32 s19, s6
	v_pk_mul_f32 v[2:3], v[72:73], s[24:25] op_sel_hi:[0,1]
	v_add_f32_e32 v7, v42, v7
	v_add_f32_e32 v15, v43, v15
	v_pk_fma_f32 v[42:43], v[70:71], s[18:19], v[2:3] op_sel_hi:[0,1,1]
	v_pk_fma_f32 v[2:3], v[70:71], s[18:19], v[2:3] op_sel_hi:[0,1,1] neg_lo:[0,0,1] neg_hi:[0,0,1]
	v_add_f32_e32 v7, v42, v7
	v_add_f32_e32 v15, v43, v15
	v_pk_add_f32 v[42:43], v[2:3], v[0:1]
	v_mul_f32_e32 v0, 0xbf29c268, v72
	v_fmamk_f32 v1, v70, 0xbf3f9e67, v0
	v_fma_f32 v0, v70, s17, -v0
	v_add_f32_e32 v0, v0, v23
	v_mul_f32_e32 v2, 0x3f52af12, v72
	v_mul_f32_e32 v23, 0xbf6f5d39, v72
	;; [unrolled: 1-line block ×3, first 2 shown]
	v_add_f32_e32 v1, v1, v25
	v_fmamk_f32 v3, v70, 0x3f116cb1, v2
	v_fma_f32 v2, v70, s7, -v2
	v_fmamk_f32 v25, v70, 0xbeb58ec6, v23
	v_fma_f32 v23, v70, s13, -v23
	;; [unrolled: 2-line block ×3, first 2 shown]
	s_waitcnt lgkmcnt(0)
	; wave barrier
	s_waitcnt lgkmcnt(0)
	ds_write2_b32 v4, v49, v71 offset1:26
	ds_write2_b32 v4, v91, v85 offset0:52 offset1:78
	ds_write2_b32 v4, v87, v89 offset0:104 offset1:130
	;; [unrolled: 1-line block ×4, first 2 shown]
	v_add_u32_e32 v49, 0x400, v4
	v_add_f32_e32 v3, v3, v51
	v_add_f32_e32 v2, v2, v53
	;; [unrolled: 1-line block ×6, first 2 shown]
	ds_write2_b32 v49, v84, v92 offset0:4 offset1:30
	ds_write_b32 v4, v75 offset:1248
	ds_write2_b32 v102, v94, v7 offset1:26
	ds_write2_b32 v102, v15, v1 offset0:52 offset1:78
	ds_write2_b32 v102, v3, v25 offset0:104 offset1:130
	;; [unrolled: 1-line block ×4, first 2 shown]
	v_add_u32_e32 v1, 0x400, v102
	ds_write2_b32 v1, v0, v43 offset0:4 offset1:30
	ds_write_b32 v102, v42 offset:1248
	v_add_u32_e32 v0, 0x400, v5
	s_waitcnt lgkmcnt(0)
	; wave barrier
	s_waitcnt lgkmcnt(0)
	ds_read2_b32 v[68:69], v0 offset0:82 offset1:134
	v_add_u32_e32 v1, 0x800, v5
	v_add_u32_e32 v2, 0xe00, v5
	ds_read2_b32 v[58:59], v0 offset0:186 offset1:238
	v_add_u32_e32 v0, 0xc00, v5
	v_add_u32_e32 v3, 0x1000, v5
	ds_read2_b32 v[70:71], v1 offset0:164 offset1:216
	ds_read2_b32 v[72:73], v2 offset0:118 offset1:170
	v_add_u32_e32 v2, v37, v47
	ds_read2_b32 v[60:61], v0 offset0:12 offset1:64
	ds_read2_b32 v[62:63], v3 offset0:94 offset1:146
	ds_read_b32 v37, v45
	ds_read_b32 v25, v103
	v_add_u32_e32 v4, v33, v46
	ds_read_b32 v45, v5
	ds_read_b32 v23, v4
	ds_read2_b32 v[48:49], v1 offset0:34 offset1:86
	ds_read2_b32 v[52:53], v0 offset0:116 offset1:168
	;; [unrolled: 1-line block ×3, first 2 shown]
	ds_read_b32 v33, v2
	ds_read_b32 v15, v104
	s_and_saveexec_b64 s[6:7], s[2:3]
	s_xor_b64 s[2:3], exec, s[6:7]
	s_cbranch_execnz .LBB0_19
; %bb.16:
	s_or_saveexec_b64 s[2:3], s[2:3]
                                        ; implicit-def: $vgpr46
	s_xor_b64 exec, exec, s[2:3]
	s_cbranch_execnz .LBB0_20
.LBB0_17:
	s_or_b64 exec, exec, s[2:3]
	s_and_saveexec_b64 s[2:3], vcc
	s_cbranch_execnz .LBB0_21
.LBB0_18:
	s_endpgm
.LBB0_19:
                                        ; implicit-def: $vgpr6
                                        ; implicit-def: $vgpr5
                                        ; implicit-def: $vgpr55
	s_or_saveexec_b64 s[2:3], s[2:3]
                                        ; implicit-def: $vgpr46
	s_xor_b64 exec, exec, s[2:3]
	s_cbranch_execz .LBB0_17
.LBB0_20:
	ds_read_b32 v43, v6
	ds_read_b32 v42, v5 offset:2600
	ds_read_b32 v46, v5 offset:3952
	ds_read_b32 v47, v5 offset:5304
	v_mov_b32_e32 v78, v55
	s_or_b64 exec, exec, s[2:3]
	s_and_saveexec_b64 s[2:3], vcc
	s_cbranch_execz .LBB0_18
.LBB0_21:
	v_mul_i32_i24_e32 v54, 3, v54
	v_mov_b32_e32 v55, 0
	v_lshl_add_u64 v[4:5], v[54:55], 3, s[4:5]
	global_load_dwordx4 v[0:3], v[4:5], off offset:2688
	global_load_dwordx2 v[56:57], v[4:5], off offset:2704
	v_mul_u32_u24_e32 v4, 3, v76
	v_lshlrev_b32_e32 v4, 3, v4
	global_load_dwordx2 v[96:97], v4, s[4:5] offset:2704
	global_load_dwordx4 v[80:83], v4, s[4:5] offset:2688
	v_mul_i32_i24_e32 v54, 3, v64
	v_lshl_add_u64 v[84:85], v[54:55], 3, s[4:5]
	v_mad_u64_u32 v[92:93], s[2:3], s8, v76, 0
	v_add_u32_e32 v75, 0x152, v76
	v_mul_i32_i24_e32 v54, 3, v67
	v_mov_b32_e32 v101, v38
	v_mov_b32_e32 v38, v93
	v_mad_u64_u32 v[106:107], s[6:7], s8, v75, 0
	v_lshl_add_u64 v[94:95], v[54:55], 3, s[4:5]
	v_mul_i32_i24_e32 v54, 3, v66
	global_load_dwordx4 v[4:7], v[84:85], off offset:2688
	global_load_dwordx2 v[64:65], v[84:85], off offset:2704
	v_mad_u64_u32 v[84:85], s[6:7], s9, v76, v[38:39]
	v_mov_b32_e32 v38, v107
	v_lshl_add_u64 v[114:115], v[54:55], 3, s[4:5]
	v_mul_i32_i24_e32 v54, 3, v74
	v_mad_u64_u32 v[66:67], s[6:7], s9, v75, v[38:39]
	v_lshl_add_u64 v[74:75], v[54:55], 3, s[4:5]
	v_mov_b32_e32 v93, v84
	global_load_dwordx4 v[84:87], v[74:75], off offset:2688
	global_load_dwordx2 v[116:117], v[74:75], off offset:2704
	v_add_u32_e32 v79, 0x2a4, v76
	v_add_u32_e32 v88, 0x3f6, v76
	v_mad_u64_u32 v[108:109], s[6:7], s8, v79, 0
	v_mov_b32_e32 v100, v40
	v_mad_u64_u32 v[110:111], s[6:7], s8, v88, 0
	v_mov_b32_e32 v40, v109
	s_waitcnt lgkmcnt(12)
	v_mov_b32_e32 v99, v70
	v_mov_b32_e32 v70, v111
	v_mad_u64_u32 v[112:113], s[6:7], s9, v79, v[40:41]
	v_mad_u64_u32 v[74:75], s[6:7], s9, v88, v[70:71]
	global_load_dwordx4 v[88:91], v[94:95], off offset:2688
	global_load_dwordx2 v[118:119], v[94:95], off offset:2704
	v_lshl_add_u64 v[120:121], v[92:93], 3, v[8:9]
	v_mov_b32_e32 v109, v112
	global_load_dwordx4 v[92:95], v[114:115], off offset:2688
	global_load_dwordx2 v[112:113], v[114:115], off offset:2704
	s_waitcnt lgkmcnt(11)
	v_mov_b32_e32 v98, v72
	s_waitcnt lgkmcnt(6)
	v_mov_b32_e32 v103, v45
	v_mov_b32_e32 v105, v44
	;; [unrolled: 1-line block ×4, first 2 shown]
	v_lshl_add_u64 v[106:107], v[106:107], 3, v[8:9]
	v_lshl_add_u64 v[108:109], v[108:109], 3, v[8:9]
	;; [unrolled: 1-line block ×3, first 2 shown]
	v_add_u32_e32 v38, 0x186, v76
	v_mov_b32_e32 v70, v73
	v_mov_b32_e32 v54, v35
	s_mov_b32 s3, 0x60f25deb
	s_movk_i32 s2, 0x3f6
	s_waitcnt vmcnt(11)
	v_mov_b32_e32 v66, v3
	s_waitcnt vmcnt(10)
	v_mov_b32_e32 v67, v56
	v_mov_b32_e32 v56, v3
	s_waitcnt vmcnt(9)
	v_mov_b32_e32 v114, v96
	s_waitcnt vmcnt(8)
	v_mov_b32_e32 v115, v82
	v_mov_b32_e32 v82, v97
	v_pk_mul_f32 v[96:97], v[68:69], v[80:81] op_sel_hi:[0,1]
	v_pk_mul_f32 v[122:123], v[100:101], v[82:83]
	v_pk_mul_f32 v[82:83], v[98:99], v[82:83]
	v_pk_fma_f32 v[124:125], v[34:35], v[80:81], v[96:97] op_sel:[0,0,1] op_sel_hi:[1,1,0] neg_lo:[0,0,1] neg_hi:[0,0,1]
	v_pk_fma_f32 v[80:81], v[34:35], v[80:81], v[96:97] op_sel:[0,0,1] op_sel_hi:[0,1,0]
	v_pk_fma_f32 v[96:97], v[98:99], v[114:115], v[122:123]
	v_pk_fma_f32 v[82:83], v[100:101], v[114:115], v[82:83] neg_lo:[0,0,1] neg_hi:[0,0,1]
	v_mov_b32_e32 v102, v81
	v_mov_b32_e32 v104, v124
	;; [unrolled: 1-line block ×3, first 2 shown]
	v_pk_add_f32 v[80:81], v[102:103], v[96:97] neg_lo:[0,1] neg_hi:[0,1]
	v_pk_add_f32 v[82:83], v[104:105], v[82:83] neg_lo:[0,1] neg_hi:[0,1]
	v_mov_b32_e32 v101, v81
	v_pk_add_f32 v[96:97], v[82:83], v[80:81] op_sel:[1,0] op_sel_hi:[0,1] neg_lo:[0,1] neg_hi:[0,1]
	v_pk_add_f32 v[98:99], v[82:83], v[80:81] op_sel:[1,0] op_sel_hi:[0,1]
	v_mov_b32_e32 v100, v83
	v_mov_b32_e32 v83, v80
	v_pk_fma_f32 v[44:45], v[44:45], 2.0, v[100:101] op_sel_hi:[1,0,1] neg_lo:[0,0,1] neg_hi:[0,0,1]
	v_pk_fma_f32 v[80:81], v[124:125], 2.0, v[82:83] op_sel_hi:[1,0,1] neg_lo:[0,0,1] neg_hi:[0,0,1]
	v_mov_b32_e32 v97, v99
	v_pk_add_f32 v[80:81], v[44:45], v[80:81] neg_lo:[0,1] neg_hi:[0,1]
	s_waitcnt vmcnt(5)
	v_mov_b32_e32 v73, v86
	v_pk_fma_f32 v[44:45], v[44:45], 2.0, v[80:81] op_sel_hi:[1,0,1] neg_lo:[0,0,1] neg_hi:[0,0,1]
	global_store_dwordx2 v[120:121], v[44:45], off
	v_pk_fma_f32 v[44:45], v[100:101], 2.0, v[96:97] op_sel_hi:[1,0,1] neg_lo:[0,0,1] neg_hi:[0,0,1]
	global_store_dwordx2 v[106:107], v[44:45], off
	global_store_dwordx2 v[108:109], v[80:81], off
	;; [unrolled: 1-line block ×3, first 2 shown]
	v_mad_u64_u32 v[44:45], s[6:7], s8, v77, 0
	v_mov_b32_e32 v34, v45
	v_mad_u64_u32 v[80:81], s[6:7], s9, v77, v[34:35]
	v_mov_b32_e32 v45, v80
	;; [unrolled: 2-line block ×3, first 2 shown]
	v_mad_u64_u32 v[82:83], s[6:7], s9, v38, v[34:35]
	v_add_u32_e32 v38, 0x2d8, v76
	v_mov_b32_e32 v81, v82
	v_mad_u64_u32 v[82:83], s[6:7], s8, v38, 0
	v_mov_b32_e32 v34, v83
	v_mad_u64_u32 v[96:97], s[6:7], s9, v38, v[34:35]
	v_add_u32_e32 v38, 0x42a, v76
	v_mov_b32_e32 v83, v96
	v_mad_u64_u32 v[96:97], s[6:7], s8, v38, 0
	v_mov_b32_e32 v34, v97
	v_mad_u64_u32 v[98:99], s[6:7], s9, v38, v[34:35]
	v_mov_b32_e32 v34, v69
	v_mov_b32_e32 v38, v41
	s_waitcnt vmcnt(8)
	v_mov_b32_e32 v86, v117
	v_pk_mul_f32 v[68:69], v[34:35], v[84:85] op_sel_hi:[0,1]
	v_mov_b32_e32 v34, v35
	v_mov_b32_e32 v72, v116
	v_pk_mul_f32 v[40:41], v[38:39], v[86:87]
	v_pk_fma_f32 v[34:35], v[34:35], v[84:85], v[68:69] op_sel:[0,0,1] op_sel_hi:[1,1,0] neg_lo:[0,0,1] neg_hi:[0,0,1]
	v_pk_fma_f32 v[68:69], v[54:55], v[84:85], v[68:69] op_sel:[0,0,1] op_sel_hi:[0,1,0]
	v_pk_fma_f32 v[40:41], v[70:71], v[72:73], v[40:41]
	v_pk_mul_f32 v[70:71], v[70:71], v[86:87]
	v_mov_b32_e32 v35, v69
	v_mov_b32_e32 v68, v69
	;; [unrolled: 1-line block ×3, first 2 shown]
	v_pk_fma_f32 v[38:39], v[38:39], v[72:73], v[70:71] neg_lo:[0,0,1] neg_hi:[0,0,1]
	v_pk_add_f32 v[40:41], v[68:69], v[40:41] neg_lo:[0,1] neg_hi:[0,1]
	v_mov_b32_e32 v68, v34
	v_mov_b32_e32 v69, v36
	v_pk_add_f32 v[38:39], v[68:69], v[38:39] neg_lo:[0,1] neg_hi:[0,1]
	v_lshl_add_u64 v[44:45], v[44:45], 3, v[8:9]
	v_pk_add_f32 v[68:69], v[38:39], v[40:41] op_sel:[1,0] op_sel_hi:[0,1] neg_lo:[0,1] neg_hi:[0,1]
	v_pk_add_f32 v[70:71], v[38:39], v[40:41] op_sel:[1,0] op_sel_hi:[0,1]
	v_mov_b32_e32 v69, v71
	v_mov_b32_e32 v70, v39
	v_mov_b32_e32 v71, v41
	v_mov_b32_e32 v39, v40
	v_pk_fma_f32 v[36:37], v[36:37], 2.0, v[70:71] op_sel_hi:[1,0,1] neg_lo:[0,0,1] neg_hi:[0,0,1]
	v_pk_fma_f32 v[34:35], v[34:35], 2.0, v[38:39] op_sel_hi:[1,0,1] neg_lo:[0,0,1] neg_hi:[0,0,1]
	v_lshl_add_u64 v[80:81], v[80:81], 3, v[8:9]
	v_pk_add_f32 v[34:35], v[36:37], v[34:35] neg_lo:[0,1] neg_hi:[0,1]
	v_mov_b32_e32 v97, v98
	v_pk_fma_f32 v[36:37], v[36:37], 2.0, v[34:35] op_sel_hi:[1,0,1] neg_lo:[0,0,1] neg_hi:[0,0,1]
	global_store_dwordx2 v[44:45], v[36:37], off
	v_pk_fma_f32 v[36:37], v[70:71], 2.0, v[68:69] op_sel_hi:[1,0,1] neg_lo:[0,0,1] neg_hi:[0,0,1]
	v_lshl_add_u64 v[82:83], v[82:83], 3, v[8:9]
	v_lshl_add_u64 v[96:97], v[96:97], 3, v[8:9]
	global_store_dwordx2 v[80:81], v[36:37], off
	global_store_dwordx2 v[82:83], v[34:35], off
	;; [unrolled: 1-line block ×3, first 2 shown]
	v_add_u32_e32 v37, 0x68, v76
	v_mad_u64_u32 v[34:35], s[6:7], s8, v37, 0
	v_mov_b32_e32 v36, v35
	v_mad_u64_u32 v[36:37], s[6:7], s9, v37, v[36:37]
	v_add_u32_e32 v39, 0x1ba, v76
	v_mov_b32_e32 v35, v36
	v_mad_u64_u32 v[36:37], s[6:7], s8, v39, 0
	v_mov_b32_e32 v38, v37
	v_mad_u64_u32 v[38:39], s[6:7], s9, v39, v[38:39]
	v_add_u32_e32 v41, 0x30c, v76
	v_mov_b32_e32 v37, v38
	;; [unrolled: 5-line block ×3, first 2 shown]
	v_mad_u64_u32 v[40:41], s[6:7], s8, v45, 0
	v_mov_b32_e32 v44, v41
	v_mad_u64_u32 v[44:45], s[6:7], s9, v45, v[44:45]
	s_waitcnt vmcnt(9)
	v_mov_b32_e32 v69, v94
	v_mov_b32_e32 v70, v30
	;; [unrolled: 1-line block ×3, first 2 shown]
	s_waitcnt vmcnt(8)
	v_mov_b32_e32 v94, v113
	v_mov_b32_e32 v41, v44
	v_mov_b32_e32 v44, v62
	v_mov_b32_e32 v45, v60
	v_mov_b32_e32 v68, v112
	v_pk_mul_f32 v[72:73], v[70:71], v[94:95]
	v_lshl_add_u64 v[34:35], v[34:35], 3, v[8:9]
	v_pk_fma_f32 v[72:73], v[44:45], v[68:69], v[72:73]
	v_pk_mul_f32 v[44:45], v[44:45], v[94:95]
	v_lshl_add_u64 v[36:37], v[36:37], 3, v[8:9]
	v_pk_fma_f32 v[44:45], v[70:71], v[68:69], v[44:45] neg_lo:[0,0,1] neg_hi:[0,0,1]
	v_pk_mul_f32 v[68:69], v[58:59], v[92:93] op_sel_hi:[0,1]
	v_pk_fma_f32 v[70:71], v[26:27], v[92:93], v[68:69] op_sel:[0,0,1] op_sel_hi:[1,1,0] neg_lo:[0,0,1] neg_hi:[0,0,1]
	v_pk_fma_f32 v[68:69], v[26:27], v[92:93], v[68:69] op_sel:[0,0,1] op_sel_hi:[0,1,0]
	v_mov_b32_e32 v71, v69
	v_mov_b32_e32 v68, v69
	s_waitcnt lgkmcnt(1)
	v_mov_b32_e32 v69, v33
	v_pk_add_f32 v[68:69], v[68:69], v[72:73] neg_lo:[0,1] neg_hi:[0,1]
	v_mov_b32_e32 v72, v70
	v_mov_b32_e32 v73, v32
	v_pk_add_f32 v[44:45], v[72:73], v[44:45] neg_lo:[0,1] neg_hi:[0,1]
	v_add_u32_e32 v28, 0x9c, v76
	v_pk_add_f32 v[72:73], v[44:45], v[68:69] op_sel:[1,0] op_sel_hi:[0,1] neg_lo:[0,1] neg_hi:[0,1]
	v_pk_add_f32 v[80:81], v[44:45], v[68:69] op_sel:[1,0] op_sel_hi:[0,1]
	v_mov_b32_e32 v73, v81
	v_mov_b32_e32 v80, v45
	;; [unrolled: 1-line block ×4, first 2 shown]
	v_pk_fma_f32 v[32:33], v[32:33], 2.0, v[80:81] op_sel_hi:[1,0,1] neg_lo:[0,0,1] neg_hi:[0,0,1]
	v_pk_fma_f32 v[44:45], v[70:71], 2.0, v[44:45] op_sel_hi:[1,0,1] neg_lo:[0,0,1] neg_hi:[0,0,1]
	v_lshl_add_u64 v[38:39], v[38:39], 3, v[8:9]
	v_pk_add_f32 v[44:45], v[32:33], v[44:45] neg_lo:[0,1] neg_hi:[0,1]
	v_lshl_add_u64 v[40:41], v[40:41], 3, v[8:9]
	v_pk_fma_f32 v[32:33], v[32:33], 2.0, v[44:45] op_sel_hi:[1,0,1] neg_lo:[0,0,1] neg_hi:[0,0,1]
	global_store_dwordx2 v[34:35], v[32:33], off
	v_pk_fma_f32 v[32:33], v[80:81], 2.0, v[72:73] op_sel_hi:[1,0,1] neg_lo:[0,0,1] neg_hi:[0,0,1]
	global_store_dwordx2 v[36:37], v[32:33], off
	global_store_dwordx2 v[38:39], v[44:45], off
	;; [unrolled: 1-line block ×3, first 2 shown]
	v_mad_u64_u32 v[32:33], s[6:7], s8, v28, 0
	v_mov_b32_e32 v26, v33
	v_mad_u64_u32 v[34:35], s[6:7], s9, v28, v[26:27]
	v_add_u32_e32 v28, 0x1ee, v76
	v_mov_b32_e32 v33, v34
	v_mad_u64_u32 v[34:35], s[6:7], s8, v28, 0
	v_mov_b32_e32 v26, v35
	v_mad_u64_u32 v[36:37], s[6:7], s9, v28, v[26:27]
	v_or_b32_e32 v28, 0x340, v76
	v_mov_b32_e32 v35, v36
	v_mad_u64_u32 v[36:37], s[6:7], s8, v28, 0
	v_mov_b32_e32 v26, v37
	v_mad_u64_u32 v[38:39], s[6:7], s9, v28, v[26:27]
	v_add_u32_e32 v28, 0x492, v76
	v_mov_b32_e32 v37, v38
	v_mad_u64_u32 v[38:39], s[6:7], s8, v28, 0
	v_mov_b32_e32 v26, v39
	v_mad_u64_u32 v[40:41], s[6:7], s9, v28, v[26:27]
	v_mov_b32_e32 v28, v31
	v_mov_b32_e32 v30, v119
	v_mov_b32_e32 v31, v91
	v_mov_b32_e32 v60, v63
	v_mov_b32_e32 v39, v40
	v_pk_mul_f32 v[40:41], v[28:29], v[30:31]
	v_mov_b32_e32 v119, v90
	v_pk_mul_f32 v[30:31], v[60:61], v[30:31]
	v_mov_b32_e32 v26, v59
	v_pk_fma_f32 v[28:29], v[28:29], v[118:119], v[30:31] neg_lo:[0,0,1] neg_hi:[0,0,1]
	v_pk_mul_f32 v[30:31], v[26:27], v[88:89] op_sel_hi:[0,1]
	v_mov_b32_e32 v26, v27
	v_mov_b32_e32 v44, v27
	v_pk_fma_f32 v[26:27], v[26:27], v[88:89], v[30:31] op_sel:[0,0,1] op_sel_hi:[1,1,0] neg_lo:[0,0,1] neg_hi:[0,0,1]
	v_pk_fma_f32 v[30:31], v[44:45], v[88:89], v[30:31] op_sel:[0,0,1] op_sel_hi:[0,1,0]
	v_pk_fma_f32 v[40:41], v[60:61], v[118:119], v[40:41]
	v_mov_b32_e32 v27, v31
	v_mov_b32_e32 v30, v31
	;; [unrolled: 1-line block ×3, first 2 shown]
	v_pk_add_f32 v[30:31], v[30:31], v[40:41] neg_lo:[0,1] neg_hi:[0,1]
	v_mov_b32_e32 v40, v26
	v_mov_b32_e32 v41, v24
	v_pk_add_f32 v[28:29], v[40:41], v[28:29] neg_lo:[0,1] neg_hi:[0,1]
	v_lshl_add_u64 v[32:33], v[32:33], 3, v[8:9]
	v_pk_add_f32 v[40:41], v[28:29], v[30:31] op_sel:[1,0] op_sel_hi:[0,1] neg_lo:[0,1] neg_hi:[0,1]
	v_pk_add_f32 v[44:45], v[28:29], v[30:31] op_sel:[1,0] op_sel_hi:[0,1]
	v_mov_b32_e32 v41, v45
	v_mov_b32_e32 v44, v29
	;; [unrolled: 1-line block ×4, first 2 shown]
	v_pk_fma_f32 v[24:25], v[24:25], 2.0, v[44:45] op_sel_hi:[1,0,1] neg_lo:[0,0,1] neg_hi:[0,0,1]
	v_pk_fma_f32 v[26:27], v[26:27], 2.0, v[28:29] op_sel_hi:[1,0,1] neg_lo:[0,0,1] neg_hi:[0,0,1]
	v_lshl_add_u64 v[34:35], v[34:35], 3, v[8:9]
	v_pk_add_f32 v[26:27], v[24:25], v[26:27] neg_lo:[0,1] neg_hi:[0,1]
	v_lshl_add_u64 v[36:37], v[36:37], 3, v[8:9]
	v_pk_fma_f32 v[24:25], v[24:25], 2.0, v[26:27] op_sel_hi:[1,0,1] neg_lo:[0,0,1] neg_hi:[0,0,1]
	global_store_dwordx2 v[32:33], v[24:25], off
	v_pk_fma_f32 v[24:25], v[44:45], 2.0, v[40:41] op_sel_hi:[1,0,1] neg_lo:[0,0,1] neg_hi:[0,0,1]
	v_lshl_add_u64 v[38:39], v[38:39], 3, v[8:9]
	global_store_dwordx2 v[34:35], v[24:25], off
	global_store_dwordx2 v[36:37], v[26:27], off
	;; [unrolled: 1-line block ×3, first 2 shown]
	v_add_u32_e32 v24, 0xd0, v76
	v_mul_hi_u32 v25, v24, s3
	v_lshrrev_b32_e32 v25, 7, v25
	v_mad_u32_u24 v32, v25, s2, v24
	v_mad_u64_u32 v[24:25], s[6:7], s8, v32, 0
	v_mov_b32_e32 v26, v25
	v_mad_u64_u32 v[26:27], s[6:7], s9, v32, v[26:27]
	v_add_u32_e32 v29, 0x152, v32
	v_mov_b32_e32 v25, v26
	v_mad_u64_u32 v[26:27], s[6:7], s8, v29, 0
	v_mov_b32_e32 v28, v27
	v_mad_u64_u32 v[28:29], s[6:7], s9, v29, v[28:29]
	v_add_u32_e32 v31, 0x2a4, v32
	v_mov_b32_e32 v27, v28
	;; [unrolled: 5-line block ×3, first 2 shown]
	v_mad_u64_u32 v[30:31], s[6:7], s8, v33, 0
	v_mov_b32_e32 v32, v31
	v_mov_b32_e32 v74, v7
	;; [unrolled: 1-line block ×3, first 2 shown]
	v_mad_u64_u32 v[32:33], s[6:7], s9, v33, v[32:33]
	v_mov_b32_e32 v36, v20
	v_mov_b32_e32 v37, v50
	;; [unrolled: 1-line block ×7, first 2 shown]
	v_pk_mul_f32 v[36:37], v[36:37], v[74:75]
	v_mov_b32_e32 v64, v7
	v_pk_fma_f32 v[32:33], v[32:33], v[34:35], v[36:37] op_sel:[0,0,1] op_sel_hi:[1,1,0]
	v_mov_b32_e32 v36, v52
	v_mov_b32_e32 v37, v50
	;; [unrolled: 1-line block ×5, first 2 shown]
	v_pk_mul_f32 v[6:7], v[36:37], v[64:65]
	v_lshl_add_u64 v[24:25], v[24:25], 3, v[8:9]
	v_pk_fma_f32 v[6:7], v[34:35], v[74:75], v[6:7] neg_lo:[0,0,1] neg_hi:[0,0,1]
	v_pk_mul_f32 v[34:35], v[48:49], v[4:5] op_sel_hi:[0,1]
	v_pk_fma_f32 v[36:37], v[16:17], v[4:5], v[34:35] op_sel:[0,0,1] op_sel_hi:[1,1,0] neg_lo:[0,0,1] neg_hi:[0,0,1]
	v_pk_fma_f32 v[4:5], v[16:17], v[4:5], v[34:35] op_sel:[0,0,1] op_sel_hi:[0,1,0]
	v_mov_b32_e32 v37, v5
	v_mov_b32_e32 v4, v5
	;; [unrolled: 1-line block ×3, first 2 shown]
	v_pk_add_f32 v[4:5], v[4:5], v[32:33] neg_lo:[0,1] neg_hi:[0,1]
	v_mov_b32_e32 v32, v22
	v_mov_b32_e32 v33, v36
	v_pk_add_f32 v[6:7], v[32:33], v[6:7] neg_lo:[0,1] neg_hi:[0,1]
	v_lshl_add_u64 v[26:27], v[26:27], 3, v[8:9]
	v_pk_add_f32 v[32:33], v[6:7], v[4:5] neg_lo:[0,1] neg_hi:[0,1]
	v_pk_add_f32 v[34:35], v[6:7], v[4:5]
	v_lshl_add_u64 v[28:29], v[28:29], 3, v[8:9]
	v_mov_b32_e32 v33, v35
	v_mov_b32_e32 v34, v6
	v_mov_b32_e32 v35, v5
	v_mov_b32_e32 v6, v7
	v_mov_b32_e32 v7, v4
	v_pk_fma_f32 v[22:23], v[22:23], 2.0, v[34:35] op_sel_hi:[1,0,1] neg_lo:[0,0,1] neg_hi:[0,0,1]
	v_pk_fma_f32 v[4:5], v[36:37], 2.0, v[6:7] op_sel_hi:[1,0,1] neg_lo:[0,0,1] neg_hi:[0,0,1]
	v_lshl_add_u64 v[30:31], v[30:31], 3, v[8:9]
	v_pk_add_f32 v[4:5], v[22:23], v[4:5] neg_lo:[0,1] neg_hi:[0,1]
	v_mov_b32_e32 v50, v21
	v_pk_fma_f32 v[6:7], v[22:23], 2.0, v[4:5] op_sel_hi:[1,0,1] neg_lo:[0,0,1] neg_hi:[0,0,1]
	global_store_dwordx2 v[24:25], v[6:7], off
	v_pk_fma_f32 v[6:7], v[34:35], 2.0, v[32:33] op_sel_hi:[1,0,1] neg_lo:[0,0,1] neg_hi:[0,0,1]
	global_store_dwordx2 v[26:27], v[6:7], off
	global_store_dwordx2 v[28:29], v[4:5], off
	;; [unrolled: 1-line block ×3, first 2 shown]
	v_add_u32_e32 v4, 0x104, v76
	v_mul_hi_u32 v5, v4, s3
	v_lshrrev_b32_e32 v5, 7, v5
	v_mad_u32_u24 v18, v5, s2, v4
	v_mad_u64_u32 v[4:5], s[2:3], s8, v18, 0
	v_mov_b32_e32 v6, v5
	v_mad_u64_u32 v[6:7], s[2:3], s9, v18, v[6:7]
	v_add_u32_e32 v20, 0x152, v18
	v_mov_b32_e32 v5, v6
	v_mad_u64_u32 v[6:7], s[2:3], s8, v20, 0
	v_mov_b32_e32 v16, v7
	v_mad_u64_u32 v[22:23], s[2:3], s9, v20, v[16:17]
	v_add_u32_e32 v20, 0x2a4, v18
	v_mov_b32_e32 v7, v22
	;; [unrolled: 5-line block ×3, first 2 shown]
	v_mad_u64_u32 v[24:25], s[2:3], s8, v18, 0
	v_mov_b32_e32 v16, v25
	v_mad_u64_u32 v[26:27], s[2:3], s9, v18, v[16:17]
	v_pk_mul_f32 v[28:29], v[50:51], v[66:67]
	v_mov_b32_e32 v50, v53
	v_mov_b32_e32 v27, v2
	;; [unrolled: 1-line block ×4, first 2 shown]
	v_pk_mul_f32 v[2:3], v[50:51], v[56:57]
	v_mov_b32_e32 v20, v49
	v_pk_fma_f32 v[2:3], v[18:19], v[66:67], v[2:3] neg_lo:[0,0,1] neg_hi:[0,0,1]
	v_mov_b32_e32 v16, v17
	v_mov_b32_e32 v18, v17
	v_pk_mul_f32 v[20:21], v[20:21], v[0:1] op_sel_hi:[0,1]
	v_mov_b32_e32 v25, v26
	v_mov_b32_e32 v52, v19
	;; [unrolled: 1-line block ×3, first 2 shown]
	v_pk_fma_f32 v[16:17], v[16:17], v[0:1], v[20:21] op_sel:[0,0,1] op_sel_hi:[1,1,0] neg_lo:[0,0,1] neg_hi:[0,0,1]
	v_pk_fma_f32 v[0:1], v[18:19], v[0:1], v[20:21] op_sel:[0,0,1] op_sel_hi:[0,1,0]
	v_pk_fma_f32 v[26:27], v[52:53], v[26:27], v[28:29] op_sel:[0,0,1] op_sel_hi:[1,1,0]
	v_mov_b32_e32 v17, v1
	v_mov_b32_e32 v0, v1
	s_waitcnt lgkmcnt(0)
	v_mov_b32_e32 v1, v15
	v_mov_b32_e32 v18, v14
	;; [unrolled: 1-line block ×3, first 2 shown]
	v_pk_add_f32 v[0:1], v[0:1], v[26:27] neg_lo:[0,1] neg_hi:[0,1]
	v_pk_add_f32 v[2:3], v[18:19], v[2:3] neg_lo:[0,1] neg_hi:[0,1]
	v_lshl_add_u64 v[4:5], v[4:5], 3, v[8:9]
	v_pk_add_f32 v[18:19], v[2:3], v[0:1] neg_lo:[0,1] neg_hi:[0,1]
	v_pk_add_f32 v[20:21], v[2:3], v[0:1]
	v_lshl_add_u64 v[6:7], v[6:7], 3, v[8:9]
	v_mov_b32_e32 v19, v21
	v_mov_b32_e32 v20, v2
	;; [unrolled: 1-line block ×5, first 2 shown]
	v_pk_fma_f32 v[14:15], v[14:15], 2.0, v[20:21] op_sel_hi:[1,0,1] neg_lo:[0,0,1] neg_hi:[0,0,1]
	v_pk_fma_f32 v[0:1], v[16:17], 2.0, v[2:3] op_sel_hi:[1,0,1] neg_lo:[0,0,1] neg_hi:[0,0,1]
	v_lshl_add_u64 v[22:23], v[22:23], 3, v[8:9]
	v_pk_add_f32 v[0:1], v[14:15], v[0:1] neg_lo:[0,1] neg_hi:[0,1]
	v_lshl_add_u64 v[24:25], v[24:25], 3, v[8:9]
	v_pk_fma_f32 v[2:3], v[14:15], 2.0, v[0:1] op_sel_hi:[1,0,1] neg_lo:[0,0,1] neg_hi:[0,0,1]
	global_store_dwordx2 v[4:5], v[2:3], off
	v_pk_fma_f32 v[2:3], v[20:21], 2.0, v[18:19] op_sel_hi:[1,0,1] neg_lo:[0,0,1] neg_hi:[0,0,1]
	global_store_dwordx2 v[6:7], v[2:3], off
	global_store_dwordx2 v[22:23], v[0:1], off
	;; [unrolled: 1-line block ×3, first 2 shown]
	s_and_b64 exec, exec, s[0:1]
	s_cbranch_execz .LBB0_18
; %bb.22:
	v_mul_i32_i24_e32 v54, 3, v78
	v_lshl_add_u64 v[4:5], v[54:55], 3, s[4:5]
	global_load_dwordx4 v[0:3], v[4:5], off offset:2688
	global_load_dwordx2 v[6:7], v[4:5], off offset:2704
	v_add_u32_e32 v15, 0x138, v76
	v_add_u32_e32 v27, 0x28a, v76
	v_add_u32_e32 v29, 0x3dc, v76
	v_add_u32_e32 v31, 0x52e, v76
	v_mad_u64_u32 v[16:17], s[0:1], s8, v15, 0
	v_mad_u64_u32 v[18:19], s[0:1], s8, v27, 0
	v_mad_u64_u32 v[20:21], s[0:1], s8, v29, 0
	v_mad_u64_u32 v[22:23], s[0:1], s8, v31, 0
	v_mov_b32_e32 v24, v17
	v_mov_b32_e32 v26, v19
	;; [unrolled: 1-line block ×4, first 2 shown]
	v_mad_u64_u32 v[24:25], s[0:1], s9, v15, v[24:25]
	v_mad_u64_u32 v[26:27], s[0:1], s9, v27, v[26:27]
	;; [unrolled: 1-line block ×4, first 2 shown]
	v_mov_b32_e32 v17, v24
	v_mov_b32_e32 v19, v26
	;; [unrolled: 1-line block ×4, first 2 shown]
	v_lshl_add_u64 v[16:17], v[16:17], 3, v[8:9]
	v_lshl_add_u64 v[18:19], v[18:19], 3, v[8:9]
	;; [unrolled: 1-line block ×4, first 2 shown]
	v_mov_b32_e32 v14, v11
	v_mov_b32_e32 v4, v11
	;; [unrolled: 1-line block ×3, first 2 shown]
	s_waitcnt vmcnt(1)
	v_mov_b32_e32 v22, v2
	s_waitcnt vmcnt(0)
	v_mov_b32_e32 v23, v6
	v_mov_b32_e32 v6, v3
	v_pk_mul_f32 v[2:3], v[42:43], v[0:1] op_sel_hi:[0,1]
	v_pk_mul_f32 v[24:25], v[46:47], v[6:7]
	v_pk_mul_f32 v[6:7], v[12:13], v[6:7]
	v_pk_fma_f32 v[26:27], v[10:11], v[0:1], v[2:3] op_sel:[0,0,1] op_sel_hi:[1,1,0] neg_lo:[0,0,1] neg_hi:[0,0,1]
	v_pk_fma_f32 v[0:1], v[10:11], v[0:1], v[2:3] op_sel:[0,0,1] op_sel_hi:[0,1,0]
	v_pk_fma_f32 v[2:3], v[12:13], v[22:23], v[24:25] neg_lo:[0,0,1] neg_hi:[0,0,1]
	v_pk_fma_f32 v[6:7], v[46:47], v[22:23], v[6:7]
	v_mov_b32_e32 v15, v26
	v_mov_b32_e32 v0, v43
	;; [unrolled: 1-line block ×3, first 2 shown]
	v_pk_add_f32 v[2:3], v[14:15], v[2:3] neg_lo:[0,1] neg_hi:[0,1]
	v_pk_add_f32 v[0:1], v[0:1], v[6:7] neg_lo:[0,1] neg_hi:[0,1]
	v_mov_b32_e32 v6, v2
	v_mov_b32_e32 v7, v0
	;; [unrolled: 1-line block ×4, first 2 shown]
	v_pk_add_f32 v[12:13], v[2:3], v[0:1] op_sel:[0,1] op_sel_hi:[1,0] neg_lo:[0,1] neg_hi:[0,1]
	v_pk_add_f32 v[0:1], v[2:3], v[0:1] op_sel:[0,1] op_sel_hi:[1,0]
	v_pk_fma_f32 v[2:3], v[4:5], 2.0, v[6:7] op_sel_hi:[1,0,1] neg_lo:[0,0,1] neg_hi:[0,0,1]
	v_pk_fma_f32 v[4:5], v[26:27], 2.0, v[10:11] op_sel_hi:[1,0,1] neg_lo:[0,0,1] neg_hi:[0,0,1]
	v_mov_b32_e32 v13, v1
	v_pk_add_f32 v[0:1], v[2:3], v[4:5] neg_lo:[0,1] neg_hi:[0,1]
	v_pk_fma_f32 v[4:5], v[6:7], 2.0, v[12:13] op_sel_hi:[1,0,1] neg_lo:[0,0,1] neg_hi:[0,0,1]
	v_pk_fma_f32 v[2:3], v[2:3], 2.0, v[0:1] op_sel_hi:[1,0,1] neg_lo:[0,0,1] neg_hi:[0,0,1]
	global_store_dwordx2 v[16:17], v[2:3], off
	global_store_dwordx2 v[18:19], v[4:5], off
	;; [unrolled: 1-line block ×4, first 2 shown]
	s_endpgm
	.section	.rodata,"a",@progbits
	.p2align	6, 0x0
	.amdhsa_kernel fft_rtc_fwd_len1352_factors_2_13_13_4_wgs_52_tpt_52_halfLds_sp_ip_CI_sbrr_dirReg
		.amdhsa_group_segment_fixed_size 0
		.amdhsa_private_segment_fixed_size 0
		.amdhsa_kernarg_size 88
		.amdhsa_user_sgpr_count 2
		.amdhsa_user_sgpr_dispatch_ptr 0
		.amdhsa_user_sgpr_queue_ptr 0
		.amdhsa_user_sgpr_kernarg_segment_ptr 1
		.amdhsa_user_sgpr_dispatch_id 0
		.amdhsa_user_sgpr_kernarg_preload_length 0
		.amdhsa_user_sgpr_kernarg_preload_offset 0
		.amdhsa_user_sgpr_private_segment_size 0
		.amdhsa_uses_dynamic_stack 0
		.amdhsa_enable_private_segment 0
		.amdhsa_system_sgpr_workgroup_id_x 1
		.amdhsa_system_sgpr_workgroup_id_y 0
		.amdhsa_system_sgpr_workgroup_id_z 0
		.amdhsa_system_sgpr_workgroup_info 0
		.amdhsa_system_vgpr_workitem_id 0
		.amdhsa_next_free_vgpr 141
		.amdhsa_next_free_sgpr 28
		.amdhsa_accum_offset 144
		.amdhsa_reserve_vcc 1
		.amdhsa_float_round_mode_32 0
		.amdhsa_float_round_mode_16_64 0
		.amdhsa_float_denorm_mode_32 3
		.amdhsa_float_denorm_mode_16_64 3
		.amdhsa_dx10_clamp 1
		.amdhsa_ieee_mode 1
		.amdhsa_fp16_overflow 0
		.amdhsa_tg_split 0
		.amdhsa_exception_fp_ieee_invalid_op 0
		.amdhsa_exception_fp_denorm_src 0
		.amdhsa_exception_fp_ieee_div_zero 0
		.amdhsa_exception_fp_ieee_overflow 0
		.amdhsa_exception_fp_ieee_underflow 0
		.amdhsa_exception_fp_ieee_inexact 0
		.amdhsa_exception_int_div_zero 0
	.end_amdhsa_kernel
	.text
.Lfunc_end0:
	.size	fft_rtc_fwd_len1352_factors_2_13_13_4_wgs_52_tpt_52_halfLds_sp_ip_CI_sbrr_dirReg, .Lfunc_end0-fft_rtc_fwd_len1352_factors_2_13_13_4_wgs_52_tpt_52_halfLds_sp_ip_CI_sbrr_dirReg
                                        ; -- End function
	.section	.AMDGPU.csdata,"",@progbits
; Kernel info:
; codeLenInByte = 19360
; NumSgprs: 34
; NumVgprs: 141
; NumAgprs: 0
; TotalNumVgprs: 141
; ScratchSize: 0
; MemoryBound: 0
; FloatMode: 240
; IeeeMode: 1
; LDSByteSize: 0 bytes/workgroup (compile time only)
; SGPRBlocks: 4
; VGPRBlocks: 17
; NumSGPRsForWavesPerEU: 34
; NumVGPRsForWavesPerEU: 141
; AccumOffset: 144
; Occupancy: 3
; WaveLimiterHint : 1
; COMPUTE_PGM_RSRC2:SCRATCH_EN: 0
; COMPUTE_PGM_RSRC2:USER_SGPR: 2
; COMPUTE_PGM_RSRC2:TRAP_HANDLER: 0
; COMPUTE_PGM_RSRC2:TGID_X_EN: 1
; COMPUTE_PGM_RSRC2:TGID_Y_EN: 0
; COMPUTE_PGM_RSRC2:TGID_Z_EN: 0
; COMPUTE_PGM_RSRC2:TIDIG_COMP_CNT: 0
; COMPUTE_PGM_RSRC3_GFX90A:ACCUM_OFFSET: 35
; COMPUTE_PGM_RSRC3_GFX90A:TG_SPLIT: 0
	.text
	.p2alignl 6, 3212836864
	.fill 256, 4, 3212836864
	.type	__hip_cuid_a3694a8b6a20a4f8,@object ; @__hip_cuid_a3694a8b6a20a4f8
	.section	.bss,"aw",@nobits
	.globl	__hip_cuid_a3694a8b6a20a4f8
__hip_cuid_a3694a8b6a20a4f8:
	.byte	0                               ; 0x0
	.size	__hip_cuid_a3694a8b6a20a4f8, 1

	.ident	"AMD clang version 19.0.0git (https://github.com/RadeonOpenCompute/llvm-project roc-6.4.0 25133 c7fe45cf4b819c5991fe208aaa96edf142730f1d)"
	.section	".note.GNU-stack","",@progbits
	.addrsig
	.addrsig_sym __hip_cuid_a3694a8b6a20a4f8
	.amdgpu_metadata
---
amdhsa.kernels:
  - .agpr_count:     0
    .args:
      - .actual_access:  read_only
        .address_space:  global
        .offset:         0
        .size:           8
        .value_kind:     global_buffer
      - .offset:         8
        .size:           8
        .value_kind:     by_value
      - .actual_access:  read_only
        .address_space:  global
        .offset:         16
        .size:           8
        .value_kind:     global_buffer
      - .actual_access:  read_only
        .address_space:  global
        .offset:         24
        .size:           8
        .value_kind:     global_buffer
      - .offset:         32
        .size:           8
        .value_kind:     by_value
      - .actual_access:  read_only
        .address_space:  global
        .offset:         40
        .size:           8
        .value_kind:     global_buffer
      - .actual_access:  read_only
        .address_space:  global
        .offset:         48
        .size:           8
        .value_kind:     global_buffer
      - .offset:         56
        .size:           4
        .value_kind:     by_value
      - .actual_access:  read_only
        .address_space:  global
        .offset:         64
        .size:           8
        .value_kind:     global_buffer
      - .actual_access:  read_only
        .address_space:  global
        .offset:         72
        .size:           8
        .value_kind:     global_buffer
      - .address_space:  global
        .offset:         80
        .size:           8
        .value_kind:     global_buffer
    .group_segment_fixed_size: 0
    .kernarg_segment_align: 8
    .kernarg_segment_size: 88
    .language:       OpenCL C
    .language_version:
      - 2
      - 0
    .max_flat_workgroup_size: 52
    .name:           fft_rtc_fwd_len1352_factors_2_13_13_4_wgs_52_tpt_52_halfLds_sp_ip_CI_sbrr_dirReg
    .private_segment_fixed_size: 0
    .sgpr_count:     34
    .sgpr_spill_count: 0
    .symbol:         fft_rtc_fwd_len1352_factors_2_13_13_4_wgs_52_tpt_52_halfLds_sp_ip_CI_sbrr_dirReg.kd
    .uniform_work_group_size: 1
    .uses_dynamic_stack: false
    .vgpr_count:     141
    .vgpr_spill_count: 0
    .wavefront_size: 64
amdhsa.target:   amdgcn-amd-amdhsa--gfx950
amdhsa.version:
  - 1
  - 2
...

	.end_amdgpu_metadata
